;; amdgpu-corpus repo=ROCm/rocFFT kind=compiled arch=gfx1201 opt=O3
	.text
	.amdgcn_target "amdgcn-amd-amdhsa--gfx1201"
	.amdhsa_code_object_version 6
	.protected	fft_rtc_fwd_len1088_factors_17_4_4_2_2_wgs_204_tpt_68_halfLds_sp_ip_CI_sbrr_dirReg ; -- Begin function fft_rtc_fwd_len1088_factors_17_4_4_2_2_wgs_204_tpt_68_halfLds_sp_ip_CI_sbrr_dirReg
	.globl	fft_rtc_fwd_len1088_factors_17_4_4_2_2_wgs_204_tpt_68_halfLds_sp_ip_CI_sbrr_dirReg
	.p2align	8
	.type	fft_rtc_fwd_len1088_factors_17_4_4_2_2_wgs_204_tpt_68_halfLds_sp_ip_CI_sbrr_dirReg,@function
fft_rtc_fwd_len1088_factors_17_4_4_2_2_wgs_204_tpt_68_halfLds_sp_ip_CI_sbrr_dirReg: ; @fft_rtc_fwd_len1088_factors_17_4_4_2_2_wgs_204_tpt_68_halfLds_sp_ip_CI_sbrr_dirReg
; %bb.0:
	s_clause 0x1
	s_load_b64 s[12:13], s[0:1], 0x18
	s_load_b128 s[4:7], s[0:1], 0x0
	v_mul_u32_u24_e32 v1, 0x3c4, v0
	v_mov_b32_e32 v5, 0
	s_load_b64 s[10:11], s[0:1], 0x50
	s_wait_kmcnt 0x0
	s_load_b64 s[8:9], s[12:13], 0x0
	v_lshrrev_b32_e32 v1, 16, v1
	v_cmp_lt_u64_e64 s2, s[6:7], 2
	s_delay_alu instid0(VALU_DEP_2) | instskip(SKIP_4) | instid1(VALU_DEP_1)
	v_mad_co_u64_u32 v[1:2], null, ttmp9, 3, v[1:2]
	v_mov_b32_e32 v3, 0
	v_mov_b32_e32 v4, 0
	;; [unrolled: 1-line block ×3, first 2 shown]
	s_and_b32 vcc_lo, exec_lo, s2
	v_dual_mov_b32 v10, v2 :: v_dual_mov_b32 v9, v1
	s_cbranch_vccnz .LBB0_8
; %bb.1:
	s_load_b64 s[2:3], s[0:1], 0x10
	v_dual_mov_b32 v3, 0 :: v_dual_mov_b32 v8, v2
	v_dual_mov_b32 v4, 0 :: v_dual_mov_b32 v7, v1
	s_add_nc_u64 s[14:15], s[12:13], 8
	s_mov_b64 s[16:17], 1
	s_wait_kmcnt 0x0
	s_add_nc_u64 s[18:19], s[2:3], 8
	s_mov_b32 s3, 0
.LBB0_2:                                ; =>This Inner Loop Header: Depth=1
	s_load_b64 s[20:21], s[18:19], 0x0
                                        ; implicit-def: $vgpr9_vgpr10
	s_mov_b32 s2, exec_lo
	s_wait_kmcnt 0x0
	v_or_b32_e32 v6, s21, v8
	s_delay_alu instid0(VALU_DEP_1)
	v_cmpx_ne_u64_e32 0, v[5:6]
	s_wait_alu 0xfffe
	s_xor_b32 s22, exec_lo, s2
	s_cbranch_execz .LBB0_4
; %bb.3:                                ;   in Loop: Header=BB0_2 Depth=1
	s_cvt_f32_u32 s2, s20
	s_cvt_f32_u32 s23, s21
	s_sub_nc_u64 s[26:27], 0, s[20:21]
	s_wait_alu 0xfffe
	s_delay_alu instid0(SALU_CYCLE_1) | instskip(SKIP_1) | instid1(SALU_CYCLE_2)
	s_fmamk_f32 s2, s23, 0x4f800000, s2
	s_wait_alu 0xfffe
	v_s_rcp_f32 s2, s2
	s_delay_alu instid0(TRANS32_DEP_1) | instskip(SKIP_1) | instid1(SALU_CYCLE_2)
	s_mul_f32 s2, s2, 0x5f7ffffc
	s_wait_alu 0xfffe
	s_mul_f32 s23, s2, 0x2f800000
	s_wait_alu 0xfffe
	s_delay_alu instid0(SALU_CYCLE_2) | instskip(SKIP_1) | instid1(SALU_CYCLE_2)
	s_trunc_f32 s23, s23
	s_wait_alu 0xfffe
	s_fmamk_f32 s2, s23, 0xcf800000, s2
	s_cvt_u32_f32 s25, s23
	s_wait_alu 0xfffe
	s_delay_alu instid0(SALU_CYCLE_1) | instskip(SKIP_1) | instid1(SALU_CYCLE_2)
	s_cvt_u32_f32 s24, s2
	s_wait_alu 0xfffe
	s_mul_u64 s[28:29], s[26:27], s[24:25]
	s_wait_alu 0xfffe
	s_mul_hi_u32 s31, s24, s29
	s_mul_i32 s30, s24, s29
	s_mul_hi_u32 s2, s24, s28
	s_mul_i32 s33, s25, s28
	s_wait_alu 0xfffe
	s_add_nc_u64 s[30:31], s[2:3], s[30:31]
	s_mul_hi_u32 s23, s25, s28
	s_mul_hi_u32 s34, s25, s29
	s_add_co_u32 s2, s30, s33
	s_wait_alu 0xfffe
	s_add_co_ci_u32 s2, s31, s23
	s_mul_i32 s28, s25, s29
	s_add_co_ci_u32 s29, s34, 0
	s_wait_alu 0xfffe
	s_add_nc_u64 s[28:29], s[2:3], s[28:29]
	s_wait_alu 0xfffe
	v_add_co_u32 v2, s2, s24, s28
	s_delay_alu instid0(VALU_DEP_1) | instskip(SKIP_1) | instid1(VALU_DEP_1)
	s_cmp_lg_u32 s2, 0
	s_add_co_ci_u32 s25, s25, s29
	v_readfirstlane_b32 s24, v2
	s_wait_alu 0xfffe
	s_delay_alu instid0(VALU_DEP_1)
	s_mul_u64 s[26:27], s[26:27], s[24:25]
	s_wait_alu 0xfffe
	s_mul_hi_u32 s29, s24, s27
	s_mul_i32 s28, s24, s27
	s_mul_hi_u32 s2, s24, s26
	s_mul_i32 s30, s25, s26
	s_wait_alu 0xfffe
	s_add_nc_u64 s[28:29], s[2:3], s[28:29]
	s_mul_hi_u32 s23, s25, s26
	s_mul_hi_u32 s24, s25, s27
	s_wait_alu 0xfffe
	s_add_co_u32 s2, s28, s30
	s_add_co_ci_u32 s2, s29, s23
	s_mul_i32 s26, s25, s27
	s_add_co_ci_u32 s27, s24, 0
	s_wait_alu 0xfffe
	s_add_nc_u64 s[26:27], s[2:3], s[26:27]
	s_wait_alu 0xfffe
	v_add_co_u32 v2, s2, v2, s26
	s_delay_alu instid0(VALU_DEP_1) | instskip(SKIP_1) | instid1(VALU_DEP_1)
	s_cmp_lg_u32 s2, 0
	s_add_co_ci_u32 s2, s25, s27
	v_mul_hi_u32 v6, v7, v2
	s_wait_alu 0xfffe
	v_mad_co_u64_u32 v[9:10], null, v7, s2, 0
	v_mad_co_u64_u32 v[11:12], null, v8, v2, 0
	;; [unrolled: 1-line block ×3, first 2 shown]
	s_delay_alu instid0(VALU_DEP_3) | instskip(SKIP_1) | instid1(VALU_DEP_4)
	v_add_co_u32 v2, vcc_lo, v6, v9
	s_wait_alu 0xfffd
	v_add_co_ci_u32_e32 v6, vcc_lo, 0, v10, vcc_lo
	s_delay_alu instid0(VALU_DEP_2) | instskip(SKIP_1) | instid1(VALU_DEP_2)
	v_add_co_u32 v2, vcc_lo, v2, v11
	s_wait_alu 0xfffd
	v_add_co_ci_u32_e32 v2, vcc_lo, v6, v12, vcc_lo
	s_wait_alu 0xfffd
	v_add_co_ci_u32_e32 v6, vcc_lo, 0, v14, vcc_lo
	s_delay_alu instid0(VALU_DEP_2) | instskip(SKIP_1) | instid1(VALU_DEP_2)
	v_add_co_u32 v2, vcc_lo, v2, v13
	s_wait_alu 0xfffd
	v_add_co_ci_u32_e32 v6, vcc_lo, 0, v6, vcc_lo
	s_delay_alu instid0(VALU_DEP_2) | instskip(SKIP_1) | instid1(VALU_DEP_3)
	v_mul_lo_u32 v11, s21, v2
	v_mad_co_u64_u32 v[9:10], null, s20, v2, 0
	v_mul_lo_u32 v12, s20, v6
	s_delay_alu instid0(VALU_DEP_2) | instskip(NEXT) | instid1(VALU_DEP_2)
	v_sub_co_u32 v9, vcc_lo, v7, v9
	v_add3_u32 v10, v10, v12, v11
	s_delay_alu instid0(VALU_DEP_1) | instskip(SKIP_1) | instid1(VALU_DEP_1)
	v_sub_nc_u32_e32 v11, v8, v10
	s_wait_alu 0xfffd
	v_subrev_co_ci_u32_e64 v11, s2, s21, v11, vcc_lo
	v_add_co_u32 v12, s2, v2, 2
	s_wait_alu 0xf1ff
	v_add_co_ci_u32_e64 v13, s2, 0, v6, s2
	v_sub_co_u32 v14, s2, v9, s20
	v_sub_co_ci_u32_e32 v10, vcc_lo, v8, v10, vcc_lo
	s_wait_alu 0xf1ff
	v_subrev_co_ci_u32_e64 v11, s2, 0, v11, s2
	s_delay_alu instid0(VALU_DEP_3) | instskip(NEXT) | instid1(VALU_DEP_3)
	v_cmp_le_u32_e32 vcc_lo, s20, v14
	v_cmp_eq_u32_e64 s2, s21, v10
	s_wait_alu 0xfffd
	v_cndmask_b32_e64 v14, 0, -1, vcc_lo
	v_cmp_le_u32_e32 vcc_lo, s21, v11
	s_wait_alu 0xfffd
	v_cndmask_b32_e64 v15, 0, -1, vcc_lo
	v_cmp_le_u32_e32 vcc_lo, s20, v9
	;; [unrolled: 3-line block ×3, first 2 shown]
	s_wait_alu 0xfffd
	v_cndmask_b32_e64 v16, 0, -1, vcc_lo
	v_cmp_eq_u32_e32 vcc_lo, s21, v11
	s_wait_alu 0xf1ff
	s_delay_alu instid0(VALU_DEP_2)
	v_cndmask_b32_e64 v9, v16, v9, s2
	s_wait_alu 0xfffd
	v_cndmask_b32_e32 v11, v15, v14, vcc_lo
	v_add_co_u32 v14, vcc_lo, v2, 1
	s_wait_alu 0xfffd
	v_add_co_ci_u32_e32 v15, vcc_lo, 0, v6, vcc_lo
	s_delay_alu instid0(VALU_DEP_3) | instskip(SKIP_1) | instid1(VALU_DEP_2)
	v_cmp_ne_u32_e32 vcc_lo, 0, v11
	s_wait_alu 0xfffd
	v_dual_cndmask_b32 v10, v15, v13 :: v_dual_cndmask_b32 v11, v14, v12
	v_cmp_ne_u32_e32 vcc_lo, 0, v9
	s_wait_alu 0xfffd
	s_delay_alu instid0(VALU_DEP_2) | instskip(NEXT) | instid1(VALU_DEP_3)
	v_cndmask_b32_e32 v10, v6, v10, vcc_lo
	v_cndmask_b32_e32 v9, v2, v11, vcc_lo
.LBB0_4:                                ;   in Loop: Header=BB0_2 Depth=1
	s_wait_alu 0xfffe
	s_and_not1_saveexec_b32 s2, s22
	s_cbranch_execz .LBB0_6
; %bb.5:                                ;   in Loop: Header=BB0_2 Depth=1
	v_cvt_f32_u32_e32 v2, s20
	s_sub_co_i32 s22, 0, s20
	s_delay_alu instid0(VALU_DEP_1) | instskip(NEXT) | instid1(TRANS32_DEP_1)
	v_rcp_iflag_f32_e32 v2, v2
	v_mul_f32_e32 v2, 0x4f7ffffe, v2
	s_delay_alu instid0(VALU_DEP_1) | instskip(SKIP_1) | instid1(VALU_DEP_1)
	v_cvt_u32_f32_e32 v2, v2
	s_wait_alu 0xfffe
	v_mul_lo_u32 v6, s22, v2
	s_delay_alu instid0(VALU_DEP_1) | instskip(NEXT) | instid1(VALU_DEP_1)
	v_mul_hi_u32 v6, v2, v6
	v_add_nc_u32_e32 v2, v2, v6
	s_delay_alu instid0(VALU_DEP_1) | instskip(NEXT) | instid1(VALU_DEP_1)
	v_mul_hi_u32 v2, v7, v2
	v_mul_lo_u32 v6, v2, s20
	v_add_nc_u32_e32 v9, 1, v2
	s_delay_alu instid0(VALU_DEP_2) | instskip(NEXT) | instid1(VALU_DEP_1)
	v_sub_nc_u32_e32 v6, v7, v6
	v_subrev_nc_u32_e32 v10, s20, v6
	v_cmp_le_u32_e32 vcc_lo, s20, v6
	s_wait_alu 0xfffd
	s_delay_alu instid0(VALU_DEP_2) | instskip(SKIP_2) | instid1(VALU_DEP_3)
	v_cndmask_b32_e32 v6, v6, v10, vcc_lo
	v_mov_b32_e32 v10, v5
	v_cndmask_b32_e32 v2, v2, v9, vcc_lo
	v_cmp_le_u32_e32 vcc_lo, s20, v6
	s_delay_alu instid0(VALU_DEP_2) | instskip(SKIP_1) | instid1(VALU_DEP_1)
	v_add_nc_u32_e32 v9, 1, v2
	s_wait_alu 0xfffd
	v_cndmask_b32_e32 v9, v2, v9, vcc_lo
.LBB0_6:                                ;   in Loop: Header=BB0_2 Depth=1
	s_wait_alu 0xfffe
	s_or_b32 exec_lo, exec_lo, s2
	s_load_b64 s[22:23], s[14:15], 0x0
	v_mul_lo_u32 v2, v10, s20
	v_mul_lo_u32 v6, v9, s21
	v_mad_co_u64_u32 v[11:12], null, v9, s20, 0
	s_add_nc_u64 s[16:17], s[16:17], 1
	s_add_nc_u64 s[14:15], s[14:15], 8
	s_wait_alu 0xfffe
	v_cmp_ge_u64_e64 s2, s[16:17], s[6:7]
	s_add_nc_u64 s[18:19], s[18:19], 8
	s_delay_alu instid0(VALU_DEP_2) | instskip(NEXT) | instid1(VALU_DEP_3)
	v_add3_u32 v2, v12, v6, v2
	v_sub_co_u32 v6, vcc_lo, v7, v11
	s_wait_alu 0xfffd
	s_delay_alu instid0(VALU_DEP_2) | instskip(SKIP_3) | instid1(VALU_DEP_2)
	v_sub_co_ci_u32_e32 v2, vcc_lo, v8, v2, vcc_lo
	s_and_b32 vcc_lo, exec_lo, s2
	s_wait_kmcnt 0x0
	v_mul_lo_u32 v7, s23, v6
	v_mul_lo_u32 v2, s22, v2
	v_mad_co_u64_u32 v[3:4], null, s22, v6, v[3:4]
	s_delay_alu instid0(VALU_DEP_1)
	v_add3_u32 v4, v7, v4, v2
	s_wait_alu 0xfffe
	s_cbranch_vccnz .LBB0_8
; %bb.7:                                ;   in Loop: Header=BB0_2 Depth=1
	v_dual_mov_b32 v7, v9 :: v_dual_mov_b32 v8, v10
	s_branch .LBB0_2
.LBB0_8:
	s_lshl_b64 s[2:3], s[6:7], 3
	v_mul_hi_u32 v5, 0x3c3c3c4, v0
	s_wait_alu 0xfffe
	s_add_nc_u64 s[2:3], s[12:13], s[2:3]
	v_dual_mov_b32 v23, 0 :: v_dual_mov_b32 v22, 0
	s_load_b64 s[2:3], s[2:3], 0x0
	s_load_b64 s[0:1], s[0:1], 0x20
                                        ; implicit-def: $vgpr45
                                        ; implicit-def: $vgpr41
                                        ; implicit-def: $vgpr19
                                        ; implicit-def: $vgpr21
                                        ; implicit-def: $vgpr15
                                        ; implicit-def: $vgpr11
                                        ; implicit-def: $vgpr13
                                        ; implicit-def: $vgpr29
                                        ; implicit-def: $vgpr43
                                        ; implicit-def: $vgpr47
                                        ; implicit-def: $vgpr49
                                        ; implicit-def: $vgpr51
                                        ; implicit-def: $vgpr17
	s_wait_kmcnt 0x0
	v_mul_lo_u32 v6, s2, v10
	v_mul_lo_u32 v7, s3, v9
	v_mad_co_u64_u32 v[2:3], null, s2, v9, v[3:4]
	v_mul_u32_u24_e32 v4, 0x44, v5
	v_cmp_gt_u64_e32 vcc_lo, s[0:1], v[9:10]
                                        ; implicit-def: $vgpr5
                                        ; implicit-def: $vgpr9
	s_delay_alu instid0(VALU_DEP_2) | instskip(NEXT) | instid1(VALU_DEP_4)
	v_sub_nc_u32_e32 v0, v0, v4
	v_add3_u32 v3, v7, v3, v6
                                        ; implicit-def: $vgpr7
	s_delay_alu instid0(VALU_DEP_2) | instskip(NEXT) | instid1(VALU_DEP_2)
	v_cmp_gt_u32_e64 s0, 64, v0
	v_lshlrev_b64_e32 v[2:3], 3, v[2:3]
	s_delay_alu instid0(VALU_DEP_2)
	s_and_b32 s1, vcc_lo, s0
	s_wait_alu 0xfffe
	s_and_saveexec_b32 s2, s1
	s_cbranch_execz .LBB0_10
; %bb.9:
	v_or_b32_e32 v12, 64, v0
	v_or_b32_e32 v13, 0x80, v0
	v_mad_co_u64_u32 v[4:5], null, s8, v0, 0
	v_or_b32_e32 v14, 0xc0, v0
	s_delay_alu instid0(VALU_DEP_4) | instskip(NEXT) | instid1(VALU_DEP_4)
	v_mad_co_u64_u32 v[6:7], null, s8, v12, 0
	v_mad_co_u64_u32 v[8:9], null, s8, v13, 0
	v_or_b32_e32 v18, 0x100, v0
	v_or_b32_e32 v19, 0x140, v0
	v_add_co_u32 v42, s1, s10, v2
	v_mad_co_u64_u32 v[10:11], null, s9, v0, v[5:6]
	v_mov_b32_e32 v5, v7
	v_mov_b32_e32 v7, v9
	v_mad_co_u64_u32 v[16:17], null, s8, v19, 0
	s_wait_alu 0xf1ff
	v_add_co_ci_u32_e64 v43, s1, s11, v3, s1
	v_mad_co_u64_u32 v[11:12], null, s9, v12, v[5:6]
	v_mov_b32_e32 v5, v10
	v_mad_co_u64_u32 v[9:10], null, s9, v13, v[7:8]
	v_mad_co_u64_u32 v[12:13], null, s8, v14, 0
	s_delay_alu instid0(VALU_DEP_3)
	v_lshlrev_b64_e32 v[4:5], 3, v[4:5]
	v_mov_b32_e32 v7, v11
	v_or_b32_e32 v26, 0x1c0, v0
	v_or_b32_e32 v30, 0x280, v0
	v_lshlrev_b64_e32 v[8:9], 3, v[8:9]
	v_or_b32_e32 v34, 0x340, v0
	v_mov_b32_e32 v10, v13
	v_lshlrev_b64_e32 v[6:7], 3, v[6:7]
	v_add_co_u32 v4, s1, v42, v4
	s_wait_alu 0xf1ff
	v_add_co_ci_u32_e64 v5, s1, v43, v5, s1
	v_mad_co_u64_u32 v[10:11], null, s9, v14, v[10:11]
	v_mad_co_u64_u32 v[14:15], null, s8, v18, 0
	v_add_co_u32 v6, s1, v42, v6
	v_mov_b32_e32 v11, v17
	s_wait_alu 0xf1ff
	v_add_co_ci_u32_e64 v7, s1, v43, v7, s1
	s_delay_alu instid0(VALU_DEP_4) | instskip(SKIP_3) | instid1(VALU_DEP_3)
	v_dual_mov_b32 v13, v10 :: v_dual_mov_b32 v10, v15
	v_add_co_u32 v8, s1, v42, v8
	s_wait_alu 0xf1ff
	v_add_co_ci_u32_e64 v9, s1, v43, v9, s1
	v_lshlrev_b64_e32 v[12:13], 3, v[12:13]
	v_mad_co_u64_u32 v[17:18], null, s9, v18, v[10:11]
	v_mad_co_u64_u32 v[24:25], null, s8, v26, 0
	v_or_b32_e32 v37, 0x380, v0
	s_delay_alu instid0(VALU_DEP_4)
	v_mad_co_u64_u32 v[10:11], null, s9, v19, v[11:12]
	v_add_co_u32 v11, s1, v42, v12
	s_wait_alu 0xf1ff
	v_add_co_ci_u32_e64 v12, s1, v43, v13, s1
	v_or_b32_e32 v13, 0x180, v0
	v_mov_b32_e32 v15, v17
	v_mov_b32_e32 v17, v10
	s_clause 0x3
	global_load_b64 v[22:23], v[4:5], off
	global_load_b64 v[44:45], v[6:7], off
	;; [unrolled: 1-line block ×4, first 2 shown]
	v_mov_b32_e32 v9, v25
	v_mad_co_u64_u32 v[20:21], null, s8, v13, 0
	v_lshlrev_b64_e32 v[7:8], 3, v[16:17]
	v_lshlrev_b64_e32 v[4:5], 3, v[14:15]
	v_or_b32_e32 v15, 0x200, v0
	v_or_b32_e32 v46, 0x3c0, v0
	;; [unrolled: 1-line block ×3, first 2 shown]
	v_mov_b32_e32 v6, v21
	v_add_co_u32 v4, s1, v42, v4
	s_wait_alu 0xf1ff
	v_add_co_ci_u32_e64 v5, s1, v43, v5, s1
	s_delay_alu instid0(VALU_DEP_3) | instskip(SKIP_3) | instid1(VALU_DEP_3)
	v_mad_co_u64_u32 v[10:11], null, s9, v13, v[6:7]
	v_add_co_u32 v6, s1, v42, v7
	s_wait_alu 0xf1ff
	v_add_co_ci_u32_e64 v7, s1, v43, v8, s1
	v_mad_co_u64_u32 v[11:12], null, s9, v26, v[9:10]
	v_mad_co_u64_u32 v[12:13], null, s8, v15, 0
	v_mov_b32_e32 v21, v10
	v_mad_co_u64_u32 v[26:27], null, s8, v30, 0
	s_delay_alu instid0(VALU_DEP_4) | instskip(NEXT) | instid1(VALU_DEP_3)
	v_mov_b32_e32 v25, v11
	v_lshlrev_b64_e32 v[9:10], 3, v[20:21]
	v_mov_b32_e32 v8, v13
	v_or_b32_e32 v11, 0x240, v0
	s_delay_alu instid0(VALU_DEP_4) | instskip(NEXT) | instid1(VALU_DEP_3)
	v_lshlrev_b64_e32 v[13:14], 3, v[24:25]
	v_mad_co_u64_u32 v[15:16], null, s9, v15, v[8:9]
	s_delay_alu instid0(VALU_DEP_3) | instskip(SKIP_4) | instid1(VALU_DEP_4)
	v_mad_co_u64_u32 v[16:17], null, s8, v11, 0
	v_add_co_u32 v8, s1, v42, v9
	s_wait_alu 0xf1ff
	v_add_co_ci_u32_e64 v9, s1, v43, v10, s1
	v_add_co_u32 v24, s1, v42, v13
	v_mov_b32_e32 v10, v17
	s_wait_alu 0xf1ff
	v_add_co_ci_u32_e64 v25, s1, v43, v14, s1
	v_mov_b32_e32 v13, v15
	s_delay_alu instid0(VALU_DEP_3)
	v_mad_co_u64_u32 v[28:29], null, s9, v11, v[10:11]
	s_clause 0x3
	global_load_b64 v[20:21], v[4:5], off
	global_load_b64 v[14:15], v[6:7], off
	;; [unrolled: 1-line block ×4, first 2 shown]
	v_or_b32_e32 v29, 0x2c0, v0
	v_lshlrev_b64_e32 v[6:7], 3, v[12:13]
	v_mov_b32_e32 v8, v27
	s_delay_alu instid0(VALU_DEP_3) | instskip(NEXT) | instid1(VALU_DEP_2)
	v_mad_co_u64_u32 v[12:13], null, s8, v29, 0
	v_mad_co_u64_u32 v[8:9], null, s9, v30, v[8:9]
	v_or_b32_e32 v30, 0x300, v0
	v_mov_b32_e32 v17, v28
	v_add_co_u32 v6, s1, v42, v6
	v_mov_b32_e32 v9, v13
	s_delay_alu instid0(VALU_DEP_4) | instskip(SKIP_4) | instid1(VALU_DEP_3)
	v_mad_co_u64_u32 v[24:25], null, s8, v30, 0
	v_mov_b32_e32 v27, v8
	v_lshlrev_b64_e32 v[16:17], 3, v[16:17]
	s_wait_alu 0xf1ff
	v_add_co_ci_u32_e64 v7, s1, v43, v7, s1
	v_lshlrev_b64_e32 v[26:27], 3, v[26:27]
	s_delay_alu instid0(VALU_DEP_3) | instskip(SKIP_2) | instid1(VALU_DEP_3)
	v_add_co_u32 v16, s1, v42, v16
	s_wait_alu 0xf1ff
	v_add_co_ci_u32_e64 v17, s1, v43, v17, s1
	v_add_co_u32 v26, s1, v42, v26
	s_wait_alu 0xf1ff
	v_add_co_ci_u32_e64 v27, s1, v43, v27, s1
	s_wait_loadcnt 0x1
	v_mad_co_u64_u32 v[8:9], null, s9, v29, v[9:10]
	v_mad_co_u64_u32 v[28:29], null, s8, v34, 0
	s_delay_alu instid0(VALU_DEP_2) | instskip(NEXT) | instid1(VALU_DEP_1)
	v_dual_mov_b32 v13, v8 :: v_dual_mov_b32 v8, v25
	v_lshlrev_b64_e32 v[12:13], 3, v[12:13]
	s_delay_alu instid0(VALU_DEP_2) | instskip(SKIP_2) | instid1(VALU_DEP_4)
	v_mad_co_u64_u32 v[8:9], null, s9, v30, v[8:9]
	v_mad_co_u64_u32 v[30:31], null, s8, v37, 0
	v_mov_b32_e32 v9, v29
	v_add_co_u32 v32, s1, v42, v12
	s_wait_alu 0xf1ff
	v_add_co_ci_u32_e64 v33, s1, v43, v13, s1
	s_delay_alu instid0(VALU_DEP_3) | instskip(SKIP_2) | instid1(VALU_DEP_2)
	v_mad_co_u64_u32 v[34:35], null, s9, v34, v[9:10]
	v_dual_mov_b32 v25, v8 :: v_dual_mov_b32 v8, v31
	v_mad_co_u64_u32 v[35:36], null, s8, v46, 0
	v_lshlrev_b64_e32 v[24:25], 3, v[24:25]
	s_delay_alu instid0(VALU_DEP_3)
	v_mad_co_u64_u32 v[37:38], null, s9, v37, v[8:9]
	v_mad_co_u64_u32 v[38:39], null, s8, v47, 0
	s_clause 0x3
	global_load_b64 v[6:7], v[6:7], off
	global_load_b64 v[8:9], v[16:17], off
	global_load_b64 v[12:13], v[26:27], off
	global_load_b64 v[16:17], v[32:33], off
	v_dual_mov_b32 v26, v36 :: v_dual_mov_b32 v29, v34
	v_add_co_u32 v24, s1, v42, v24
	v_mov_b32_e32 v31, v37
	s_delay_alu instid0(VALU_DEP_3) | instskip(NEXT) | instid1(VALU_DEP_4)
	v_mad_co_u64_u32 v[26:27], null, s9, v46, v[26:27]
	v_lshlrev_b64_e32 v[28:29], 3, v[28:29]
	v_mov_b32_e32 v27, v39
	s_wait_alu 0xf1ff
	v_add_co_ci_u32_e64 v25, s1, v43, v25, s1
	v_lshlrev_b64_e32 v[30:31], 3, v[30:31]
	v_mov_b32_e32 v36, v26
	v_mad_co_u64_u32 v[32:33], null, s9, v47, v[27:28]
	v_add_co_u32 v26, s1, v42, v28
	s_wait_alu 0xf1ff
	v_add_co_ci_u32_e64 v27, s1, v43, v29, s1
	v_lshlrev_b64_e32 v[28:29], 3, v[35:36]
	v_add_co_u32 v30, s1, v42, v30
	v_mov_b32_e32 v39, v32
	s_wait_alu 0xf1ff
	v_add_co_ci_u32_e64 v31, s1, v43, v31, s1
	s_delay_alu instid0(VALU_DEP_4) | instskip(NEXT) | instid1(VALU_DEP_3)
	v_add_co_u32 v34, s1, v42, v28
	v_lshlrev_b64_e32 v[32:33], 3, v[38:39]
	s_wait_alu 0xf1ff
	v_add_co_ci_u32_e64 v35, s1, v43, v29, s1
	s_delay_alu instid0(VALU_DEP_2) | instskip(SKIP_1) | instid1(VALU_DEP_3)
	v_add_co_u32 v32, s1, v42, v32
	s_wait_alu 0xf1ff
	v_add_co_ci_u32_e64 v33, s1, v43, v33, s1
	s_clause 0x4
	global_load_b64 v[28:29], v[24:25], off
	global_load_b64 v[42:43], v[26:27], off
	;; [unrolled: 1-line block ×5, first 2 shown]
.LBB0_10:
	s_wait_alu 0xfffe
	s_or_b32 exec_lo, exec_lo, s2
	v_mul_hi_u32 v24, 0xaaaaaaab, v1
	s_delay_alu instid0(VALU_DEP_1) | instskip(NEXT) | instid1(VALU_DEP_1)
	v_lshrrev_b32_e32 v24, 1, v24
	v_lshl_add_u32 v24, v24, 1, v24
	s_delay_alu instid0(VALU_DEP_1) | instskip(NEXT) | instid1(VALU_DEP_1)
	v_sub_nc_u32_e32 v1, v1, v24
	v_mul_u32_u24_e32 v1, 0x440, v1
	s_delay_alu instid0(VALU_DEP_1)
	v_lshlrev_b32_e32 v52, 2, v1
	s_and_saveexec_b32 s1, s0
	s_cbranch_execz .LBB0_12
; %bb.11:
	s_wait_loadcnt 0x0
	v_dual_sub_f32 v35, v45, v49 :: v_dual_add_f32 v30, v44, v48
	v_dual_add_f32 v25, v40, v50 :: v_dual_sub_f32 v36, v41, v51
	v_add_f32_e32 v1, v18, v46
	s_delay_alu instid0(VALU_DEP_3) | instskip(SKIP_1) | instid1(VALU_DEP_4)
	v_dual_mul_f32 v53, 0xbe3c28d5, v35 :: v_dual_add_f32 v24, v20, v42
	v_dual_sub_f32 v37, v19, v47 :: v_dual_add_f32 v26, v14, v28
	v_mul_f32_e32 v54, 0x3eb8f4ab, v36
	s_delay_alu instid0(VALU_DEP_3) | instskip(SKIP_1) | instid1(VALU_DEP_2)
	v_dual_fmamk_f32 v27, v30, 0xbf7ba420, v53 :: v_dual_sub_f32 v38, v11, v17
	v_dual_sub_f32 v33, v21, v43 :: v_dual_sub_f32 v34, v15, v29
	v_dual_mul_f32 v55, 0xbf06c442, v37 :: v_dual_add_f32 v32, v22, v27
	s_delay_alu instid0(VALU_DEP_4) | instskip(NEXT) | instid1(VALU_DEP_3)
	v_fmamk_f32 v31, v25, 0x3f6eb680, v54
	v_dual_add_f32 v27, v10, v16 :: v_dual_mul_f32 v56, 0x3f2c7751, v33
	s_delay_alu instid0(VALU_DEP_3) | instskip(SKIP_1) | instid1(VALU_DEP_4)
	v_fmamk_f32 v57, v1, 0xbf59a7d5, v55
	v_fma_f32 v53, 0xbf7ba420, v30, -v53
	v_add_f32_e32 v32, v32, v31
	v_dual_add_f32 v31, v4, v12 :: v_dual_mul_f32 v58, 0xbf4c4adb, v34
	v_dual_sub_f32 v39, v5, v13 :: v_dual_mul_f32 v60, 0x3f65296c, v38
	v_fmamk_f32 v59, v24, 0x3f3d2fb0, v56
	s_delay_alu instid0(VALU_DEP_4) | instskip(SKIP_1) | instid1(VALU_DEP_4)
	v_add_f32_e32 v57, v57, v32
	v_fma_f32 v54, 0x3f6eb680, v25, -v54
	v_dual_add_f32 v53, v22, v53 :: v_dual_fmamk_f32 v62, v27, 0x3ee437d1, v60
	v_fma_f32 v55, 0xbf59a7d5, v1, -v55
	s_delay_alu instid0(VALU_DEP_4)
	v_add_f32_e32 v57, v59, v57
	v_mul_f32_e32 v65, 0x3f4c4adb, v33
	v_fmamk_f32 v61, v26, 0xbf1a4643, v58
	v_dual_add_f32 v53, v53, v54 :: v_dual_mul_f32 v64, 0xbf7ee86f, v37
	v_mul_f32_e32 v54, 0xbf06c442, v35
	v_fma_f32 v56, 0x3f3d2fb0, v24, -v56
	s_delay_alu instid0(VALU_DEP_4) | instskip(NEXT) | instid1(VALU_DEP_4)
	v_add_f32_e32 v57, v61, v57
	v_add_f32_e32 v53, v55, v53
	v_dual_sub_f32 v55, v7, v9 :: v_dual_add_f32 v32, v6, v8
	v_mul_f32_e32 v67, 0xbeb8f4ab, v37
	v_mul_f32_e32 v73, 0x3e3c28d5, v37
	s_delay_alu instid0(VALU_DEP_4)
	v_add_f32_e32 v53, v56, v53
	v_fma_f32 v56, 0xbf1a4643, v26, -v58
	v_dual_mul_f32 v58, 0x3f7ee86f, v55 :: v_dual_add_f32 v57, v62, v57
	v_fmamk_f32 v62, v30, 0xbf59a7d5, v54
	v_fma_f32 v54, 0xbf59a7d5, v30, -v54
	v_mul_f32_e32 v59, 0xbf763a35, v39
	v_add_f32_e32 v53, v56, v53
	v_fma_f32 v56, 0x3ee437d1, v27, -v60
	v_add_f32_e32 v62, v22, v62
	s_delay_alu instid0(VALU_DEP_4) | instskip(SKIP_1) | instid1(VALU_DEP_4)
	v_dual_add_f32 v54, v22, v54 :: v_dual_fmamk_f32 v61, v31, 0xbe8c1d8e, v59
	v_fmamk_f32 v60, v32, 0x3dbcf732, v58
	v_add_f32_e32 v53, v56, v53
	v_fma_f32 v56, 0xbe8c1d8e, v31, -v59
	v_mul_f32_e32 v70, 0xbf65296c, v33
	v_add_f32_e32 v57, v61, v57
	v_mul_f32_e32 v61, 0x3f65296c, v36
	s_delay_alu instid0(VALU_DEP_2) | instskip(NEXT) | instid1(VALU_DEP_2)
	v_add_f32_e32 v57, v60, v57
	v_fmamk_f32 v63, v25, 0x3ee437d1, v61
	v_fmamk_f32 v60, v24, 0xbf1a4643, v65
	s_delay_alu instid0(VALU_DEP_2) | instskip(NEXT) | instid1(VALU_DEP_1)
	v_dual_add_f32 v62, v62, v63 :: v_dual_fmamk_f32 v63, v1, 0x3dbcf732, v64
	v_add_f32_e32 v59, v63, v62
	v_mul_f32_e32 v62, 0xbeb8f4ab, v34
	v_mul_f32_e32 v63, 0x3f2c7751, v39
	s_delay_alu instid0(VALU_DEP_1) | instskip(SKIP_1) | instid1(VALU_DEP_4)
	v_dual_fmamk_f32 v66, v31, 0x3f3d2fb0, v63 :: v_dual_add_f32 v53, v56, v53
	v_fma_f32 v56, 0x3dbcf732, v32, -v58
	v_dual_add_f32 v58, v60, v59 :: v_dual_fmamk_f32 v59, v26, 0x3f6eb680, v62
	s_delay_alu instid0(VALU_DEP_2) | instskip(NEXT) | instid1(VALU_DEP_2)
	v_dual_mul_f32 v60, 0xbe3c28d5, v38 :: v_dual_add_f32 v53, v56, v53
	v_add_f32_e32 v58, v59, v58
	v_fma_f32 v56, 0x3ee437d1, v25, -v61
	s_delay_alu instid0(VALU_DEP_1) | instskip(SKIP_1) | instid1(VALU_DEP_2)
	v_dual_fmamk_f32 v59, v27, 0xbf7ba420, v60 :: v_dual_add_f32 v54, v54, v56
	v_fma_f32 v56, 0x3dbcf732, v1, -v64
	v_add_f32_e32 v58, v59, v58
	v_mul_f32_e32 v64, 0x3f763a35, v36
	s_delay_alu instid0(VALU_DEP_3) | instskip(NEXT) | instid1(VALU_DEP_3)
	v_add_f32_e32 v54, v56, v54
	v_add_f32_e32 v58, v66, v58
	v_fma_f32 v56, 0xbf1a4643, v24, -v65
	v_mul_f32_e32 v66, 0xbf763a35, v55
	v_fmamk_f32 v65, v25, 0xbe8c1d8e, v64
	v_fma_f32 v64, 0xbe8c1d8e, v25, -v64
	s_delay_alu instid0(VALU_DEP_4) | instskip(SKIP_4) | instid1(VALU_DEP_4)
	v_add_f32_e32 v54, v56, v54
	v_fma_f32 v56, 0x3f6eb680, v26, -v62
	v_fmamk_f32 v68, v32, 0xbe8c1d8e, v66
	v_fmamk_f32 v62, v1, 0x3f6eb680, v67
	v_fma_f32 v66, 0xbe8c1d8e, v32, -v66
	v_add_f32_e32 v54, v56, v54
	v_fma_f32 v56, 0xbf7ba420, v27, -v60
	v_dual_mul_f32 v61, 0xbf4c4adb, v35 :: v_dual_add_f32 v58, v68, v58
	s_delay_alu instid0(VALU_DEP_2) | instskip(SKIP_1) | instid1(VALU_DEP_3)
	v_add_f32_e32 v54, v56, v54
	v_fma_f32 v56, 0x3f3d2fb0, v31, -v63
	v_fmamk_f32 v59, v30, 0xbf1a4643, v61
	v_mul_f32_e32 v63, 0xbf2c7751, v38
	v_fma_f32 v61, 0xbf1a4643, v30, -v61
	s_delay_alu instid0(VALU_DEP_3) | instskip(NEXT) | instid1(VALU_DEP_2)
	v_dual_add_f32 v54, v56, v54 :: v_dual_add_f32 v59, v22, v59
	v_dual_add_f32 v61, v22, v61 :: v_dual_mul_f32 v68, 0xbf763a35, v35
	s_delay_alu instid0(VALU_DEP_2) | instskip(SKIP_2) | instid1(VALU_DEP_4)
	v_dual_add_f32 v54, v66, v54 :: v_dual_add_f32 v59, v59, v65
	v_mul_f32_e32 v65, 0xbf06c442, v33
	v_mul_f32_e32 v66, 0x3f06c442, v36
	v_add_f32_e32 v61, v61, v64
	s_delay_alu instid0(VALU_DEP_3) | instskip(NEXT) | instid1(VALU_DEP_1)
	v_dual_add_f32 v59, v62, v59 :: v_dual_fmamk_f32 v60, v24, 0xbf59a7d5, v65
	v_dual_mul_f32 v62, 0x3f7ee86f, v34 :: v_dual_add_f32 v59, v60, v59
	s_delay_alu instid0(VALU_DEP_1) | instskip(SKIP_1) | instid1(VALU_DEP_2)
	v_fmamk_f32 v60, v26, 0x3dbcf732, v62
	v_fma_f32 v62, 0x3dbcf732, v26, -v62
	v_dual_add_f32 v56, v60, v59 :: v_dual_fmamk_f32 v59, v27, 0x3f3d2fb0, v63
	v_mul_f32_e32 v60, 0xbe3c28d5, v39
	s_delay_alu instid0(VALU_DEP_2) | instskip(SKIP_1) | instid1(VALU_DEP_3)
	v_add_f32_e32 v56, v59, v56
	v_fma_f32 v64, 0x3f6eb680, v1, -v67
	v_fmamk_f32 v59, v31, 0xbf7ba420, v60
	v_fmamk_f32 v67, v25, 0xbf59a7d5, v66
	v_fma_f32 v60, 0xbf7ba420, v31, -v60
	v_fma_f32 v66, 0xbf59a7d5, v25, -v66
	v_add_f32_e32 v61, v64, v61
	v_fma_f32 v64, 0xbf59a7d5, v24, -v65
	s_delay_alu instid0(VALU_DEP_1) | instskip(NEXT) | instid1(VALU_DEP_1)
	v_dual_add_f32 v56, v59, v56 :: v_dual_add_f32 v61, v64, v61
	v_add_f32_e32 v61, v62, v61
	v_fma_f32 v62, 0x3f3d2fb0, v27, -v63
	v_fmamk_f32 v63, v24, 0x3ee437d1, v70
	s_delay_alu instid0(VALU_DEP_2) | instskip(SKIP_1) | instid1(VALU_DEP_2)
	v_add_f32_e32 v61, v62, v61
	v_fma_f32 v62, 0xbe8c1d8e, v30, -v68
	v_dual_fmamk_f32 v59, v30, 0xbe8c1d8e, v68 :: v_dual_add_f32 v60, v60, v61
	s_delay_alu instid0(VALU_DEP_2) | instskip(NEXT) | instid1(VALU_DEP_1)
	v_dual_add_f32 v62, v22, v62 :: v_dual_mul_f32 v65, 0x3f65296c, v55
	v_add_f32_e32 v62, v62, v66
	s_delay_alu instid0(VALU_DEP_2) | instskip(SKIP_1) | instid1(VALU_DEP_2)
	v_dual_add_f32 v59, v22, v59 :: v_dual_fmamk_f32 v64, v32, 0x3ee437d1, v65
	v_fma_f32 v65, 0x3ee437d1, v32, -v65
	v_dual_mul_f32 v69, 0x3f2c7751, v37 :: v_dual_add_f32 v56, v64, v56
	s_delay_alu instid0(VALU_DEP_2) | instskip(NEXT) | instid1(VALU_DEP_2)
	v_add_f32_e32 v60, v65, v60
	v_fma_f32 v66, 0x3f3d2fb0, v1, -v69
	v_mul_f32_e32 v64, 0xbe3c28d5, v34
	s_delay_alu instid0(VALU_DEP_2) | instskip(SKIP_3) | instid1(VALU_DEP_3)
	v_add_f32_e32 v62, v66, v62
	v_fma_f32 v66, 0x3ee437d1, v24, -v70
	v_add_f32_e32 v59, v59, v67
	v_mul_f32_e32 v70, 0xbf4c4adb, v55
	v_dual_add_f32 v62, v66, v62 :: v_dual_fmamk_f32 v67, v1, 0x3f3d2fb0, v69
	s_delay_alu instid0(VALU_DEP_2) | instskip(SKIP_1) | instid1(VALU_DEP_3)
	v_fmamk_f32 v71, v32, 0xbf1a4643, v70
	v_fma_f32 v70, 0xbf1a4643, v32, -v70
	v_add_f32_e32 v59, v67, v59
	v_mul_f32_e32 v67, 0x3f7ee86f, v38
	s_delay_alu instid0(VALU_DEP_2) | instskip(SKIP_2) | instid1(VALU_DEP_1)
	v_add_f32_e32 v59, v63, v59
	v_fmamk_f32 v63, v26, 0xbf7ba420, v64
	v_fma_f32 v64, 0xbf7ba420, v26, -v64
	v_add_f32_e32 v62, v64, v62
	v_fma_f32 v64, 0x3dbcf732, v27, -v67
	s_delay_alu instid0(VALU_DEP_1) | instskip(SKIP_1) | instid1(VALU_DEP_1)
	v_dual_add_f32 v62, v64, v62 :: v_dual_add_f32 v59, v63, v59
	v_mul_f32_e32 v63, 0xbeb8f4ab, v39
	v_fmamk_f32 v68, v31, 0x3f6eb680, v63
	v_fma_f32 v63, 0x3f6eb680, v31, -v63
	s_delay_alu instid0(VALU_DEP_1) | instskip(SKIP_1) | instid1(VALU_DEP_2)
	v_dual_mul_f32 v69, 0xbe3c28d5, v36 :: v_dual_add_f32 v62, v63, v62
	v_fmamk_f32 v61, v27, 0x3dbcf732, v67
	v_fmamk_f32 v66, v25, 0xbf7ba420, v69
	v_mul_f32_e32 v67, 0x3eb8f4ab, v33
	v_fma_f32 v69, 0xbf7ba420, v25, -v69
	s_delay_alu instid0(VALU_DEP_4) | instskip(SKIP_2) | instid1(VALU_DEP_3)
	v_dual_add_f32 v62, v70, v62 :: v_dual_add_f32 v59, v61, v59
	v_mul_f32_e32 v61, 0xbf7ee86f, v35
	v_mul_f32_e32 v70, 0x3f2c7751, v55
	v_add_f32_e32 v59, v68, v59
	s_delay_alu instid0(VALU_DEP_3) | instskip(SKIP_2) | instid1(VALU_DEP_3)
	v_fmamk_f32 v65, v30, 0x3dbcf732, v61
	v_mul_f32_e32 v68, 0x3f763a35, v37
	v_fma_f32 v61, 0x3dbcf732, v30, -v61
	v_dual_fmamk_f32 v72, v32, 0x3f3d2fb0, v70 :: v_dual_add_f32 v65, v22, v65
	s_delay_alu instid0(VALU_DEP_2) | instskip(NEXT) | instid1(VALU_DEP_2)
	v_add_f32_e32 v61, v22, v61
	v_add_f32_e32 v65, v65, v66
	v_fmamk_f32 v66, v1, 0xbe8c1d8e, v68
	s_delay_alu instid0(VALU_DEP_3) | instskip(SKIP_1) | instid1(VALU_DEP_3)
	v_add_f32_e32 v61, v61, v69
	v_fma_f32 v68, 0xbe8c1d8e, v1, -v68
	v_dual_mul_f32 v69, 0xbf65296c, v35 :: v_dual_add_f32 v64, v66, v65
	v_fmamk_f32 v65, v24, 0x3f6eb680, v67
	s_delay_alu instid0(VALU_DEP_3) | instskip(SKIP_2) | instid1(VALU_DEP_3)
	v_dual_mul_f32 v66, 0xbf65296c, v34 :: v_dual_add_f32 v61, v68, v61
	v_fma_f32 v67, 0x3f6eb680, v24, -v67
	v_mul_f32_e32 v68, 0xbf4c4adb, v36
	v_dual_add_f32 v63, v65, v64 :: v_dual_fmamk_f32 v64, v26, 0x3ee437d1, v66
	v_mul_f32_e32 v65, 0xbf06c442, v38
	s_delay_alu instid0(VALU_DEP_4) | instskip(SKIP_2) | instid1(VALU_DEP_4)
	v_add_f32_e32 v61, v67, v61
	v_fma_f32 v66, 0x3ee437d1, v26, -v66
	v_fmamk_f32 v67, v25, 0xbf1a4643, v68
	v_dual_add_f32 v63, v64, v63 :: v_dual_fmamk_f32 v64, v27, 0xbf59a7d5, v65
	v_add_f32_e32 v59, v71, v59
	v_mul_f32_e32 v71, 0x3f4c4adb, v39
	v_dual_add_f32 v61, v66, v61 :: v_dual_fmamk_f32 v66, v1, 0xbf7ba420, v73
	s_delay_alu instid0(VALU_DEP_4) | instskip(SKIP_1) | instid1(VALU_DEP_4)
	v_add_f32_e32 v63, v64, v63
	v_fma_f32 v65, 0xbf59a7d5, v27, -v65
	v_fmamk_f32 v64, v31, 0xbf1a4643, v71
	v_fma_f32 v68, 0xbf1a4643, v25, -v68
	s_delay_alu instid0(VALU_DEP_3) | instskip(NEXT) | instid1(VALU_DEP_3)
	v_add_f32_e32 v61, v65, v61
	v_dual_add_f32 v63, v64, v63 :: v_dual_fmamk_f32 v64, v30, 0x3ee437d1, v69
	s_delay_alu instid0(VALU_DEP_1) | instskip(SKIP_1) | instid1(VALU_DEP_2)
	v_dual_add_f32 v63, v72, v63 :: v_dual_add_f32 v64, v22, v64
	v_mul_f32_e32 v72, 0x3f2c7751, v34
	v_dual_add_f32 v64, v64, v67 :: v_dual_mul_f32 v67, 0x3f763a35, v33
	s_delay_alu instid0(VALU_DEP_2) | instskip(NEXT) | instid1(VALU_DEP_2)
	v_fmamk_f32 v65, v26, 0x3f3d2fb0, v72
	v_add_f32_e32 v64, v66, v64
	s_delay_alu instid0(VALU_DEP_3) | instskip(SKIP_1) | instid1(VALU_DEP_2)
	v_fmamk_f32 v66, v24, 0xbe8c1d8e, v67
	v_fma_f32 v67, 0xbe8c1d8e, v24, -v67
	v_add_f32_e32 v64, v66, v64
	v_mul_f32_e32 v66, 0xbeb8f4ab, v38
	s_delay_alu instid0(VALU_DEP_1) | instskip(SKIP_1) | instid1(VALU_DEP_2)
	v_dual_add_f32 v64, v65, v64 :: v_dual_fmamk_f32 v65, v27, 0x3f6eb680, v66
	v_fma_f32 v66, 0x3f6eb680, v27, -v66
	v_add_f32_e32 v64, v65, v64
	v_fma_f32 v69, 0x3ee437d1, v30, -v69
	s_delay_alu instid0(VALU_DEP_1) | instskip(NEXT) | instid1(VALU_DEP_1)
	v_add_f32_e32 v69, v22, v69
	v_add_f32_e32 v68, v69, v68
	v_fma_f32 v69, 0xbf7ba420, v1, -v73
	s_delay_alu instid0(VALU_DEP_1) | instskip(SKIP_2) | instid1(VALU_DEP_3)
	v_dual_mul_f32 v73, 0xbe3c28d5, v33 :: v_dual_add_f32 v68, v69, v68
	v_fma_f32 v69, 0xbf1a4643, v31, -v71
	v_mul_f32_e32 v71, 0xbf7ee86f, v39
	v_add_f32_e32 v67, v67, v68
	v_fma_f32 v68, 0x3f3d2fb0, v26, -v72
	v_mul_f32_e32 v72, 0xbf4c4adb, v37
	v_add_f32_e32 v61, v69, v61
	v_fma_f32 v69, 0x3f3d2fb0, v32, -v70
	s_delay_alu instid0(VALU_DEP_4) | instskip(SKIP_2) | instid1(VALU_DEP_4)
	v_dual_mul_f32 v70, 0xbf7ee86f, v36 :: v_dual_add_f32 v67, v68, v67
	v_mul_f32_e32 v68, 0xbf2c7751, v35
	v_mul_f32_e32 v35, 0xbeb8f4ab, v35
	v_dual_add_f32 v61, v69, v61 :: v_dual_mul_f32 v36, 0xbf2c7751, v36
	s_delay_alu instid0(VALU_DEP_4) | instskip(SKIP_3) | instid1(VALU_DEP_3)
	v_add_f32_e32 v66, v66, v67
	v_fma_f32 v67, 0x3dbcf732, v31, -v71
	v_fmamk_f32 v69, v30, 0x3f3d2fb0, v68
	v_fma_f32 v68, 0x3f3d2fb0, v30, -v68
	v_dual_mul_f32 v37, 0xbf65296c, v37 :: v_dual_add_f32 v66, v67, v66
	s_delay_alu instid0(VALU_DEP_3) | instskip(NEXT) | instid1(VALU_DEP_3)
	v_add_f32_e32 v67, v22, v69
	v_dual_fmamk_f32 v69, v25, 0x3dbcf732, v70 :: v_dual_add_f32 v68, v22, v68
	v_fma_f32 v70, 0x3dbcf732, v25, -v70
	s_delay_alu instid0(VALU_DEP_2) | instskip(NEXT) | instid1(VALU_DEP_2)
	v_add_f32_e32 v67, v67, v69
	v_dual_fmamk_f32 v69, v1, 0xbf1a4643, v72 :: v_dual_add_f32 v68, v68, v70
	v_fma_f32 v70, 0xbf1a4643, v1, -v72
	v_fma_f32 v72, 0xbf7ba420, v24, -v73
	s_delay_alu instid0(VALU_DEP_2) | instskip(SKIP_1) | instid1(VALU_DEP_2)
	v_add_f32_e32 v68, v70, v68
	v_add_f32_e32 v70, v22, v44
	v_dual_add_f32 v68, v72, v68 :: v_dual_fmamk_f32 v65, v31, 0x3dbcf732, v71
	s_delay_alu instid0(VALU_DEP_2) | instskip(SKIP_1) | instid1(VALU_DEP_3)
	v_add_f32_e32 v70, v70, v40
	v_mul_f32_e32 v72, 0x3f65296c, v39
	v_dual_add_f32 v64, v65, v64 :: v_dual_mul_f32 v65, 0xbf06c442, v55
	s_delay_alu instid0(VALU_DEP_1) | instskip(SKIP_1) | instid1(VALU_DEP_1)
	v_dual_add_f32 v70, v70, v18 :: v_dual_fmamk_f32 v71, v32, 0xbf59a7d5, v65
	v_fma_f32 v65, 0xbf59a7d5, v32, -v65
	v_add_f32_e32 v65, v65, v66
	v_dual_add_f32 v66, v69, v67 :: v_dual_fmamk_f32 v67, v24, 0xbf7ba420, v73
	v_mul_f32_e32 v69, 0x3f06c442, v34
	v_mul_f32_e32 v73, 0x3f763a35, v38
	;; [unrolled: 1-line block ×3, first 2 shown]
	s_delay_alu instid0(VALU_DEP_3) | instskip(SKIP_1) | instid1(VALU_DEP_2)
	v_dual_add_f32 v66, v67, v66 :: v_dual_fmamk_f32 v67, v26, 0xbf59a7d5, v69
	v_fma_f32 v69, 0xbf59a7d5, v26, -v69
	v_add_f32_e32 v66, v67, v66
	s_delay_alu instid0(VALU_DEP_2) | instskip(SKIP_1) | instid1(VALU_DEP_2)
	v_dual_fmamk_f32 v67, v27, 0xbe8c1d8e, v73 :: v_dual_add_f32 v68, v69, v68
	v_fma_f32 v69, 0xbe8c1d8e, v27, -v73
	v_add_f32_e32 v66, v67, v66
	s_delay_alu instid0(VALU_DEP_2) | instskip(SKIP_3) | instid1(VALU_DEP_2)
	v_dual_add_f32 v68, v69, v68 :: v_dual_mul_f32 v33, 0xbf7ee86f, v33
	v_add_f32_e32 v67, v70, v20
	v_fma_f32 v69, 0x3ee437d1, v31, -v72
	v_fmamk_f32 v70, v31, 0x3ee437d1, v72
	v_dual_add_f32 v67, v67, v14 :: v_dual_add_f32 v68, v69, v68
	v_fma_f32 v69, 0x3f6eb680, v30, -v35
	v_fmamk_f32 v30, v30, 0x3f6eb680, v35
	s_delay_alu instid0(VALU_DEP_4) | instskip(NEXT) | instid1(VALU_DEP_4)
	v_add_f32_e32 v66, v70, v66
	v_add_f32_e32 v67, v67, v10
	s_delay_alu instid0(VALU_DEP_1) | instskip(SKIP_3) | instid1(VALU_DEP_4)
	v_add_f32_e32 v35, v67, v4
	v_add_f32_e32 v67, v22, v69
	v_fma_f32 v69, 0x3f3d2fb0, v25, -v36
	v_dual_add_f32 v22, v22, v30 :: v_dual_fmamk_f32 v25, v25, 0x3f3d2fb0, v36
	v_add_f32_e32 v30, v35, v6
	v_fma_f32 v36, 0x3ee437d1, v1, -v37
	s_delay_alu instid0(VALU_DEP_4) | instskip(NEXT) | instid1(VALU_DEP_4)
	v_add_f32_e32 v35, v67, v69
	v_dual_fmamk_f32 v1, v1, 0x3ee437d1, v37 :: v_dual_add_f32 v22, v22, v25
	s_delay_alu instid0(VALU_DEP_2) | instskip(SKIP_1) | instid1(VALU_DEP_2)
	v_dual_add_f32 v30, v30, v8 :: v_dual_add_f32 v25, v36, v35
	v_fma_f32 v35, 0x3dbcf732, v24, -v33
	v_dual_add_f32 v1, v1, v22 :: v_dual_add_f32 v30, v30, v12
	v_fmamk_f32 v22, v24, 0x3dbcf732, v33
	s_delay_alu instid0(VALU_DEP_3) | instskip(NEXT) | instid1(VALU_DEP_3)
	v_dual_mul_f32 v33, 0xbf4c4adb, v38 :: v_dual_add_f32 v24, v35, v25
	v_add_f32_e32 v25, v30, v16
	v_fma_f32 v30, 0xbe8c1d8e, v26, -v34
	s_delay_alu instid0(VALU_DEP_4) | instskip(SKIP_4) | instid1(VALU_DEP_4)
	v_add_f32_e32 v1, v22, v1
	v_fmamk_f32 v22, v26, 0xbe8c1d8e, v34
	v_fma_f32 v26, 0xbf1a4643, v27, -v33
	v_add_f32_e32 v25, v28, v25
	v_dual_mul_f32 v73, 0x3eb8f4ab, v55 :: v_dual_add_f32 v24, v30, v24
	v_dual_mul_f32 v30, 0xbf06c442, v39 :: v_dual_add_f32 v1, v22, v1
	s_delay_alu instid0(VALU_DEP_3) | instskip(NEXT) | instid1(VALU_DEP_3)
	v_dual_add_f32 v22, v42, v25 :: v_dual_fmamk_f32 v25, v27, 0xbf1a4643, v33
	v_add_f32_e32 v24, v26, v24
	s_delay_alu instid0(VALU_DEP_3) | instskip(NEXT) | instid1(VALU_DEP_3)
	v_fma_f32 v26, 0xbf59a7d5, v31, -v30
	v_dual_mul_f32 v27, 0xbe3c28d5, v55 :: v_dual_add_f32 v22, v46, v22
	s_delay_alu instid0(VALU_DEP_4) | instskip(NEXT) | instid1(VALU_DEP_3)
	v_add_f32_e32 v1, v25, v1
	v_dual_fmamk_f32 v25, v31, 0xbf59a7d5, v30 :: v_dual_add_f32 v24, v26, v24
	s_delay_alu instid0(VALU_DEP_3) | instskip(NEXT) | instid1(VALU_DEP_4)
	v_fma_f32 v26, 0xbf7ba420, v32, -v27
	v_add_f32_e32 v22, v50, v22
	v_mul_u32_u24_e32 v30, 0x44, v0
	v_fma_f32 v72, 0x3f6eb680, v32, -v73
	v_dual_fmamk_f32 v70, v32, 0x3f6eb680, v73 :: v_dual_add_f32 v1, v25, v1
	v_dual_fmamk_f32 v25, v32, 0xbf7ba420, v27 :: v_dual_add_f32 v24, v26, v24
	v_add_f32_e32 v22, v48, v22
	v_add3_u32 v26, 0, v30, v52
	v_add_f32_e32 v27, v72, v68
	v_dual_add_f32 v30, v71, v64 :: v_dual_add_f32 v31, v70, v66
	v_add_f32_e32 v1, v25, v1
	ds_store_2addr_b32 v26, v22, v24 offset1:1
	ds_store_2addr_b32 v26, v27, v65 offset0:2 offset1:3
	ds_store_2addr_b32 v26, v61, v62 offset0:4 offset1:5
	;; [unrolled: 1-line block ×7, first 2 shown]
	ds_store_b32 v26, v1 offset:64
.LBB0_12:
	s_wait_alu 0xfffe
	s_or_b32 exec_lo, exec_lo, s1
	v_lshlrev_b32_e32 v1, 2, v0
	global_wb scope:SCOPE_SE
	s_wait_loadcnt_dscnt 0x0
	s_barrier_signal -1
	s_barrier_wait -1
	global_inv scope:SCOPE_SE
	v_add_nc_u32_e32 v61, 0, v1
	v_add3_u32 v53, 0, v52, v1
	s_delay_alu instid0(VALU_DEP_2) | instskip(NEXT) | instid1(VALU_DEP_1)
	v_add_nc_u32_e32 v22, v61, v52
	v_add_nc_u32_e32 v57, 0x200, v22
	;; [unrolled: 1-line block ×6, first 2 shown]
	ds_load_2addr_b32 v[24:25], v22 offset0:68 offset1:136
	v_add_nc_u32_e32 v56, 0xc00, v22
	ds_load_2addr_b32 v[26:27], v57 offset0:76 offset1:144
	ds_load_2addr_b32 v[32:33], v59 offset0:92 offset1:160
	ds_load_2addr_b32 v[30:31], v58 offset0:108 offset1:176
	ds_load_2addr_b32 v[38:39], v55 offset0:84 offset1:152
	ds_load_2addr_b32 v[36:37], v54 offset0:100 offset1:168
	ds_load_2addr_b32 v[34:35], v56 offset0:116 offset1:184
	ds_load_b32 v1, v53
	ds_load_b32 v60, v22 offset:4080
	global_wb scope:SCOPE_SE
	s_wait_dscnt 0x0
	s_barrier_signal -1
	s_barrier_wait -1
	global_inv scope:SCOPE_SE
	s_and_saveexec_b32 s1, s0
	s_cbranch_execz .LBB0_14
; %bb.13:
	v_sub_f32_e32 v44, v44, v48
	v_add_f32_e32 v62, v23, v45
	v_dual_add_f32 v45, v45, v49 :: v_dual_sub_f32 v18, v18, v46
	s_delay_alu instid0(VALU_DEP_3) | instskip(NEXT) | instid1(VALU_DEP_3)
	v_dual_sub_f32 v20, v20, v42 :: v_dual_mul_f32 v63, 0xbf65296c, v44
	v_dual_add_f32 v48, v41, v51 :: v_dual_add_f32 v41, v62, v41
	v_sub_f32_e32 v40, v40, v50
	v_sub_f32_e32 v14, v14, v28
	v_sub_f32_e32 v10, v10, v16
	s_delay_alu instid0(VALU_DEP_4) | instskip(SKIP_1) | instid1(VALU_DEP_2)
	v_dual_sub_f32 v4, v4, v12 :: v_dual_add_f32 v41, v41, v19
	v_dual_mul_f32 v50, 0xbeb8f4ab, v44 :: v_dual_add_f32 v19, v19, v47
	v_dual_add_f32 v41, v41, v21 :: v_dual_mul_f32 v62, 0xbf2c7751, v44
	v_add_f32_e32 v21, v21, v43
	s_delay_alu instid0(VALU_DEP_2) | instskip(SKIP_1) | instid1(VALU_DEP_2)
	v_dual_add_f32 v41, v41, v15 :: v_dual_mul_f32 v64, 0xbf7ee86f, v44
	v_add_f32_e32 v15, v15, v29
	v_add_f32_e32 v41, v41, v11
	s_delay_alu instid0(VALU_DEP_3)
	v_fmamk_f32 v76, v45, 0x3dbcf732, v64
	v_fma_f32 v64, 0x3dbcf732, v45, -v64
	v_mul_f32_e32 v66, 0xbf4c4adb, v44
	v_fmamk_f32 v75, v45, 0x3ee437d1, v63
	v_add_f32_e32 v41, v41, v5
	v_fma_f32 v63, 0x3ee437d1, v45, -v63
	v_add_f32_e32 v64, v23, v64
	s_delay_alu instid0(VALU_DEP_4) | instskip(SKIP_2) | instid1(VALU_DEP_3)
	v_dual_fmamk_f32 v74, v45, 0x3f3d2fb0, v62 :: v_dual_add_f32 v75, v23, v75
	v_fma_f32 v62, 0x3f3d2fb0, v45, -v62
	v_mul_f32_e32 v69, 0xbf7ee86f, v40
	v_dual_mul_f32 v67, 0xbf06c442, v44 :: v_dual_add_f32 v74, v23, v74
	s_delay_alu instid0(VALU_DEP_3) | instskip(NEXT) | instid1(VALU_DEP_3)
	v_dual_add_f32 v41, v41, v7 :: v_dual_add_f32 v62, v23, v62
	v_fmamk_f32 v81, v48, 0x3dbcf732, v69
	v_dual_fmamk_f32 v73, v45, 0x3f6eb680, v50 :: v_dual_add_f32 v76, v23, v76
	v_fma_f32 v50, 0x3f6eb680, v45, -v50
	v_mul_f32_e32 v65, 0xbf763a35, v44
	v_mul_f32_e32 v44, 0xbe3c28d5, v44
	v_dual_mul_f32 v68, 0xbf2c7751, v40 :: v_dual_add_f32 v41, v41, v9
	v_mul_f32_e32 v70, 0xbf4c4adb, v40
	v_dual_mul_f32 v72, 0x3f06c442, v40 :: v_dual_add_f32 v73, v23, v73
	v_dual_fmamk_f32 v78, v45, 0xbf1a4643, v66 :: v_dual_add_f32 v63, v23, v63
	s_delay_alu instid0(VALU_DEP_3) | instskip(SKIP_2) | instid1(VALU_DEP_3)
	v_dual_add_f32 v41, v41, v13 :: v_dual_fmamk_f32 v82, v48, 0xbf1a4643, v70
	v_fma_f32 v66, 0xbf1a4643, v45, -v66
	v_fma_f32 v70, 0xbf1a4643, v48, -v70
	v_dual_add_f32 v50, v23, v50 :: v_dual_add_f32 v41, v41, v17
	s_delay_alu instid0(VALU_DEP_3) | instskip(SKIP_1) | instid1(VALU_DEP_3)
	v_dual_fmamk_f32 v77, v45, 0xbe8c1d8e, v65 :: v_dual_add_f32 v66, v23, v66
	v_dual_mul_f32 v71, 0xbe3c28d5, v40 :: v_dual_add_f32 v78, v23, v78
	v_add_f32_e32 v41, v29, v41
	v_fma_f32 v65, 0xbe8c1d8e, v45, -v65
	s_delay_alu instid0(VALU_DEP_4) | instskip(SKIP_1) | instid1(VALU_DEP_4)
	v_dual_fmamk_f32 v80, v45, 0xbf7ba420, v44 :: v_dual_add_f32 v77, v23, v77
	v_fmamk_f32 v79, v45, 0xbf59a7d5, v67
	v_add_f32_e32 v41, v43, v41
	v_fma_f32 v67, 0xbf59a7d5, v45, -v67
	v_fma_f32 v44, 0xbf7ba420, v45, -v44
	v_fmamk_f32 v45, v48, 0x3f3d2fb0, v68
	v_fma_f32 v68, 0x3f3d2fb0, v48, -v68
	v_fma_f32 v69, 0x3dbcf732, v48, -v69
	v_dual_add_f32 v63, v63, v70 :: v_dual_fmamk_f32 v70, v48, 0xbf59a7d5, v72
	v_add_f32_e32 v41, v47, v41
	v_add_f32_e32 v65, v23, v65
	v_add_f32_e32 v67, v23, v67
	v_add_f32_e32 v80, v23, v80
	v_dual_add_f32 v70, v77, v70 :: v_dual_add_f32 v79, v23, v79
	v_dual_add_f32 v23, v23, v44 :: v_dual_add_f32 v44, v73, v45
	v_add_f32_e32 v41, v51, v41
	v_add_f32_e32 v45, v50, v68
	;; [unrolled: 1-line block ×3, first 2 shown]
	v_fma_f32 v68, 0xbf7ba420, v48, -v71
	v_dual_mul_f32 v69, 0x3f763a35, v40 :: v_dual_add_f32 v50, v74, v81
	v_dual_add_f32 v62, v75, v82 :: v_dual_mul_f32 v43, 0xbf7ee86f, v20
	s_delay_alu instid0(VALU_DEP_3) | instskip(NEXT) | instid1(VALU_DEP_3)
	v_add_f32_e32 v64, v64, v68
	v_fmamk_f32 v68, v48, 0xbe8c1d8e, v69
	v_fma_f32 v69, 0xbe8c1d8e, v48, -v69
	v_mul_f32_e32 v47, 0xbf65296c, v18
	v_add_f32_e32 v5, v5, v13
	s_delay_alu instid0(VALU_DEP_4)
	v_dual_add_f32 v7, v7, v9 :: v_dual_add_f32 v68, v78, v68
	v_add_f32_e32 v41, v49, v41
	v_fmamk_f32 v49, v48, 0xbf7ba420, v71
	v_fma_f32 v71, 0xbf59a7d5, v48, -v72
	v_add_f32_e32 v66, v66, v69
	v_mul_f32_e32 v72, 0x3f763a35, v18
	s_delay_alu instid0(VALU_DEP_3) | instskip(SKIP_2) | instid1(VALU_DEP_3)
	v_dual_sub_f32 v6, v6, v8 :: v_dual_add_f32 v65, v65, v71
	v_mul_f32_e32 v71, 0x3f65296c, v40
	v_mul_f32_e32 v40, 0x3eb8f4ab, v40
	;; [unrolled: 1-line block ×3, first 2 shown]
	s_delay_alu instid0(VALU_DEP_3) | instskip(SKIP_1) | instid1(VALU_DEP_4)
	v_fmamk_f32 v46, v48, 0x3ee437d1, v71
	v_fma_f32 v69, 0x3ee437d1, v48, -v71
	v_fmamk_f32 v71, v48, 0x3f6eb680, v40
	v_fma_f32 v40, 0x3f6eb680, v48, -v40
	s_delay_alu instid0(VALU_DEP_4) | instskip(NEXT) | instid1(VALU_DEP_3)
	v_dual_add_f32 v46, v79, v46 :: v_dual_add_f32 v49, v76, v49
	v_dual_add_f32 v48, v67, v69 :: v_dual_add_f32 v67, v80, v71
	v_fmamk_f32 v69, v19, 0x3ee437d1, v47
	v_mul_f32_e32 v71, 0xbf4c4adb, v18
	v_add_f32_e32 v23, v23, v40
	s_delay_alu instid0(VALU_DEP_2) | instskip(SKIP_1) | instid1(VALU_DEP_1)
	v_dual_add_f32 v44, v69, v44 :: v_dual_fmamk_f32 v69, v19, 0xbf1a4643, v71
	v_fma_f32 v71, 0xbf1a4643, v19, -v71
	v_dual_add_f32 v50, v69, v50 :: v_dual_add_f32 v51, v71, v51
	v_fma_f32 v71, 0xbe8c1d8e, v19, -v72
	s_delay_alu instid0(VALU_DEP_1) | instskip(SKIP_1) | instid1(VALU_DEP_1)
	v_dual_mul_f32 v69, 0x3f2c7751, v18 :: v_dual_add_f32 v64, v71, v64
	v_fma_f32 v40, 0x3ee437d1, v19, -v47
	v_dual_mul_f32 v47, 0x3e3c28d5, v18 :: v_dual_add_f32 v40, v40, v45
	s_delay_alu instid0(VALU_DEP_1) | instskip(NEXT) | instid1(VALU_DEP_1)
	v_fmamk_f32 v45, v19, 0xbf7ba420, v47
	v_dual_add_f32 v45, v45, v62 :: v_dual_fmamk_f32 v62, v19, 0xbe8c1d8e, v72
	v_mul_f32_e32 v72, 0xbf7ee86f, v18
	v_fma_f32 v47, 0xbf7ba420, v19, -v47
	s_delay_alu instid0(VALU_DEP_2) | instskip(NEXT) | instid1(VALU_DEP_2)
	v_fma_f32 v42, 0x3dbcf732, v19, -v72
	v_add_f32_e32 v47, v47, v63
	v_mul_f32_e32 v63, 0xbeb8f4ab, v18
	v_dual_mul_f32 v18, 0xbf06c442, v18 :: v_dual_add_f32 v49, v62, v49
	v_fmamk_f32 v62, v19, 0x3f3d2fb0, v69
	v_fma_f32 v69, 0x3f3d2fb0, v19, -v69
	v_add_f32_e32 v42, v42, v48
	v_mul_f32_e32 v48, 0xbe3c28d5, v20
	s_delay_alu instid0(VALU_DEP_3) | instskip(SKIP_3) | instid1(VALU_DEP_2)
	v_dual_add_f32 v62, v62, v70 :: v_dual_add_f32 v65, v69, v65
	v_fmamk_f32 v71, v19, 0x3f6eb680, v63
	v_fma_f32 v63, 0x3f6eb680, v19, -v63
	v_fmamk_f32 v69, v19, 0x3dbcf732, v72
	v_add_f32_e32 v63, v63, v66
	v_fmamk_f32 v66, v19, 0xbf59a7d5, v18
	v_fma_f32 v18, 0xbf59a7d5, v19, -v18
	s_delay_alu instid0(VALU_DEP_2) | instskip(SKIP_1) | instid1(VALU_DEP_3)
	v_dual_add_f32 v46, v69, v46 :: v_dual_add_f32 v19, v66, v67
	v_fmamk_f32 v66, v21, 0x3dbcf732, v43
	v_dual_add_f32 v18, v18, v23 :: v_dual_mul_f32 v23, 0x3f763a35, v20
	s_delay_alu instid0(VALU_DEP_2) | instskip(SKIP_2) | instid1(VALU_DEP_1)
	v_add_f32_e32 v44, v66, v44
	v_mul_f32_e32 v66, 0x3eb8f4ab, v20
	v_fma_f32 v43, 0x3dbcf732, v21, -v43
	v_dual_fmamk_f32 v67, v21, 0xbf7ba420, v48 :: v_dual_add_f32 v40, v43, v40
	v_fma_f32 v43, 0xbf7ba420, v21, -v48
	v_fmamk_f32 v48, v21, 0xbe8c1d8e, v23
	s_delay_alu instid0(VALU_DEP_3) | instskip(NEXT) | instid1(VALU_DEP_3)
	v_add_f32_e32 v50, v67, v50
	v_add_f32_e32 v43, v43, v51
	s_delay_alu instid0(VALU_DEP_3) | instskip(SKIP_1) | instid1(VALU_DEP_2)
	v_dual_add_f32 v45, v48, v45 :: v_dual_mul_f32 v48, 0xbf65296c, v20
	v_fmamk_f32 v51, v21, 0x3f6eb680, v66
	v_fmamk_f32 v67, v21, 0x3ee437d1, v48
	v_fma_f32 v48, 0x3ee437d1, v21, -v48
	s_delay_alu instid0(VALU_DEP_1) | instskip(NEXT) | instid1(VALU_DEP_4)
	v_dual_add_f32 v48, v48, v65 :: v_dual_mul_f32 v65, 0x3f4c4adb, v20
	v_add_f32_e32 v49, v51, v49
	v_dual_mul_f32 v29, 0xbf763a35, v14 :: v_dual_add_f32 v68, v71, v68
	s_delay_alu instid0(VALU_DEP_3) | instskip(NEXT) | instid1(VALU_DEP_1)
	v_fmamk_f32 v28, v21, 0xbf1a4643, v65
	v_add_f32_e32 v28, v28, v46
	v_fma_f32 v23, 0xbe8c1d8e, v21, -v23
	s_delay_alu instid0(VALU_DEP_1) | instskip(SKIP_3) | instid1(VALU_DEP_3)
	v_dual_mul_f32 v46, 0x3f06c442, v14 :: v_dual_add_f32 v23, v23, v47
	v_fma_f32 v47, 0x3f6eb680, v21, -v66
	v_mul_f32_e32 v66, 0xbf06c442, v20
	v_mul_f32_e32 v20, 0x3f2c7751, v20
	v_add_f32_e32 v47, v47, v64
	s_delay_alu instid0(VALU_DEP_3) | instskip(SKIP_1) | instid1(VALU_DEP_2)
	v_fma_f32 v64, 0xbf59a7d5, v21, -v66
	v_fmamk_f32 v51, v21, 0xbf59a7d5, v66
	v_add_f32_e32 v63, v64, v63
	v_fma_f32 v64, 0xbf1a4643, v21, -v65
	v_fmamk_f32 v65, v21, 0x3f3d2fb0, v20
	v_fma_f32 v20, 0x3f3d2fb0, v21, -v20
	s_delay_alu instid0(VALU_DEP_3) | instskip(NEXT) | instid1(VALU_DEP_2)
	v_dual_add_f32 v21, v64, v42 :: v_dual_fmamk_f32 v42, v15, 0xbe8c1d8e, v29
	v_add_f32_e32 v18, v20, v18
	v_fma_f32 v20, 0xbe8c1d8e, v15, -v29
	v_mul_f32_e32 v64, 0xbf65296c, v14
	s_delay_alu instid0(VALU_DEP_4) | instskip(SKIP_1) | instid1(VALU_DEP_4)
	v_add_f32_e32 v42, v42, v44
	v_fmamk_f32 v44, v15, 0xbf59a7d5, v46
	v_add_f32_e32 v20, v20, v40
	v_add_f32_e32 v62, v67, v62
	s_delay_alu instid0(VALU_DEP_3) | instskip(SKIP_3) | instid1(VALU_DEP_2)
	v_dual_add_f32 v44, v44, v50 :: v_dual_add_f32 v51, v51, v68
	v_mul_f32_e32 v29, 0x3f2c7751, v14
	v_fma_f32 v50, 0x3ee437d1, v15, -v64
	v_add_f32_e32 v11, v11, v17
	v_dual_fmamk_f32 v40, v15, 0x3f3d2fb0, v29 :: v_dual_add_f32 v47, v50, v47
	s_delay_alu instid0(VALU_DEP_1) | instskip(SKIP_4) | instid1(VALU_DEP_4)
	v_dual_add_f32 v40, v40, v45 :: v_dual_fmamk_f32 v45, v15, 0x3ee437d1, v64
	v_mul_f32_e32 v64, 0xbeb8f4ab, v14
	v_fma_f32 v46, 0xbf59a7d5, v15, -v46
	v_fma_f32 v29, 0x3f3d2fb0, v15, -v29
	v_mul_f32_e32 v17, 0xbf4c4adb, v10
	v_fma_f32 v16, 0x3f6eb680, v15, -v64
	s_delay_alu instid0(VALU_DEP_4) | instskip(NEXT) | instid1(VALU_DEP_4)
	v_dual_add_f32 v43, v46, v43 :: v_dual_mul_f32 v46, 0xbe3c28d5, v14
	v_add_f32_e32 v23, v29, v23
	v_mul_f32_e32 v29, 0x3f7ee86f, v14
	v_dual_add_f32 v19, v65, v19 :: v_dual_mul_f32 v14, 0xbf4c4adb, v14
	v_add_f32_e32 v45, v45, v49
	v_dual_fmamk_f32 v49, v15, 0xbf7ba420, v46 :: v_dual_add_f32 v16, v16, v21
	v_fma_f32 v46, 0xbf7ba420, v15, -v46
	v_fmamk_f32 v50, v15, 0x3dbcf732, v29
	s_delay_alu instid0(VALU_DEP_2) | instskip(NEXT) | instid1(VALU_DEP_2)
	v_add_f32_e32 v46, v46, v48
	v_add_f32_e32 v48, v50, v51
	v_fmamk_f32 v50, v15, 0x3f6eb680, v64
	s_delay_alu instid0(VALU_DEP_1) | instskip(SKIP_3) | instid1(VALU_DEP_4)
	v_dual_fmamk_f32 v21, v11, 0xbf1a4643, v17 :: v_dual_add_f32 v28, v50, v28
	v_fma_f32 v29, 0x3dbcf732, v15, -v29
	v_fmamk_f32 v50, v15, 0xbf1a4643, v14
	v_fma_f32 v14, 0xbf1a4643, v15, -v14
	v_add_f32_e32 v21, v21, v42
	s_delay_alu instid0(VALU_DEP_2) | instskip(NEXT) | instid1(VALU_DEP_4)
	v_dual_add_f32 v29, v29, v63 :: v_dual_add_f32 v14, v14, v18
	v_dual_mul_f32 v18, 0xbeb8f4ab, v10 :: v_dual_add_f32 v15, v50, v19
	v_mul_f32_e32 v19, 0x3f763a35, v10
	v_add_f32_e32 v49, v49, v62
	v_mul_f32_e32 v13, 0xbf06c442, v4
	s_delay_alu instid0(VALU_DEP_3) | instskip(NEXT) | instid1(VALU_DEP_1)
	v_fmamk_f32 v50, v11, 0xbe8c1d8e, v19
	v_add_f32_e32 v42, v50, v44
	v_fma_f32 v17, 0xbf1a4643, v11, -v17
	s_delay_alu instid0(VALU_DEP_1) | instskip(SKIP_2) | instid1(VALU_DEP_2)
	v_dual_mul_f32 v44, 0xbf06c442, v10 :: v_dual_add_f32 v17, v17, v20
	v_fmamk_f32 v20, v11, 0x3f6eb680, v18
	v_fma_f32 v18, 0x3f6eb680, v11, -v18
	v_add_f32_e32 v20, v20, v40
	s_delay_alu instid0(VALU_DEP_2) | instskip(SKIP_3) | instid1(VALU_DEP_3)
	v_add_f32_e32 v18, v18, v23
	v_fma_f32 v19, 0xbe8c1d8e, v11, -v19
	v_mul_f32_e32 v40, 0x3f7ee86f, v10
	v_fma_f32 v23, 0xbf59a7d5, v11, -v44
	v_add_f32_e32 v19, v19, v43
	s_delay_alu instid0(VALU_DEP_3) | instskip(SKIP_3) | instid1(VALU_DEP_3)
	v_fmamk_f32 v50, v11, 0x3dbcf732, v40
	v_fma_f32 v40, 0x3dbcf732, v11, -v40
	v_fmamk_f32 v43, v11, 0xbf59a7d5, v44
	v_dual_mul_f32 v44, 0xbf2c7751, v10 :: v_dual_add_f32 v23, v23, v47
	v_dual_add_f32 v47, v50, v49 :: v_dual_add_f32 v40, v40, v46
	v_mul_f32_e32 v46, 0xbe3c28d5, v10
	s_delay_alu instid0(VALU_DEP_4) | instskip(NEXT) | instid1(VALU_DEP_2)
	v_dual_mul_f32 v10, 0x3f65296c, v10 :: v_dual_add_f32 v43, v43, v45
	v_fmamk_f32 v12, v11, 0xbf7ba420, v46
	v_fmamk_f32 v45, v11, 0x3f3d2fb0, v44
	v_fma_f32 v44, 0x3f3d2fb0, v11, -v44
	s_delay_alu instid0(VALU_DEP_3) | instskip(NEXT) | instid1(VALU_DEP_3)
	v_add_f32_e32 v12, v12, v28
	v_add_f32_e32 v45, v45, v48
	s_delay_alu instid0(VALU_DEP_3) | instskip(SKIP_4) | instid1(VALU_DEP_4)
	v_add_f32_e32 v29, v44, v29
	v_fma_f32 v44, 0xbf7ba420, v11, -v46
	v_fmamk_f32 v46, v11, 0x3ee437d1, v10
	v_fma_f32 v10, 0x3ee437d1, v11, -v10
	v_mul_f32_e32 v28, 0x3f65296c, v4
	v_add_f32_e32 v11, v44, v16
	s_delay_alu instid0(VALU_DEP_4) | instskip(NEXT) | instid1(VALU_DEP_4)
	v_add_f32_e32 v15, v46, v15
	v_add_f32_e32 v10, v10, v14
	v_fmamk_f32 v16, v5, 0xbf59a7d5, v13
	v_fma_f32 v13, 0xbf59a7d5, v5, -v13
	v_mul_f32_e32 v14, 0xbf7ee86f, v4
	s_delay_alu instid0(VALU_DEP_3) | instskip(SKIP_1) | instid1(VALU_DEP_4)
	v_dual_add_f32 v16, v16, v21 :: v_dual_fmamk_f32 v21, v5, 0x3ee437d1, v28
	v_fma_f32 v28, 0x3ee437d1, v5, -v28
	v_add_f32_e32 v13, v13, v17
	s_delay_alu instid0(VALU_DEP_4) | instskip(NEXT) | instid1(VALU_DEP_4)
	v_fmamk_f32 v17, v5, 0x3dbcf732, v14
	v_dual_mul_f32 v44, 0x3f4c4adb, v4 :: v_dual_add_f32 v21, v21, v42
	v_fma_f32 v14, 0x3dbcf732, v5, -v14
	v_dual_add_f32 v19, v28, v19 :: v_dual_mul_f32 v28, 0xbeb8f4ab, v4
	s_delay_alu instid0(VALU_DEP_3) | instskip(NEXT) | instid1(VALU_DEP_3)
	v_fma_f32 v42, 0xbf1a4643, v5, -v44
	v_dual_add_f32 v14, v14, v18 :: v_dual_add_f32 v17, v17, v20
	v_fmamk_f32 v20, v5, 0xbf1a4643, v44
	s_delay_alu instid0(VALU_DEP_3) | instskip(SKIP_2) | instid1(VALU_DEP_4)
	v_dual_mul_f32 v18, 0xbe3c28d5, v4 :: v_dual_add_f32 v23, v42, v23
	v_mul_f32_e32 v44, 0x3f2c7751, v4
	v_mul_f32_e32 v4, 0xbf763a35, v4
	v_dual_add_f32 v20, v20, v43 :: v_dual_fmamk_f32 v43, v5, 0x3f6eb680, v28
	v_fma_f32 v28, 0x3f6eb680, v5, -v28
	s_delay_alu instid0(VALU_DEP_4) | instskip(NEXT) | instid1(VALU_DEP_2)
	v_fma_f32 v8, 0x3f3d2fb0, v5, -v44
	v_add_f32_e32 v28, v28, v40
	s_delay_alu instid0(VALU_DEP_4) | instskip(SKIP_1) | instid1(VALU_DEP_4)
	v_dual_fmamk_f32 v42, v5, 0xbf7ba420, v18 :: v_dual_add_f32 v43, v43, v47
	v_fma_f32 v18, 0xbf7ba420, v5, -v18
	v_add_f32_e32 v8, v8, v11
	s_delay_alu instid0(VALU_DEP_3) | instskip(SKIP_1) | instid1(VALU_DEP_4)
	v_add_f32_e32 v40, v42, v45
	v_fmamk_f32 v42, v5, 0x3f3d2fb0, v44
	v_dual_add_f32 v18, v18, v29 :: v_dual_fmamk_f32 v29, v5, 0xbe8c1d8e, v4
	v_fma_f32 v4, 0xbe8c1d8e, v5, -v4
	s_delay_alu instid0(VALU_DEP_2) | instskip(SKIP_3) | instid1(VALU_DEP_3)
	v_add_f32_e32 v5, v29, v15
	v_fmamk_f32 v15, v7, 0xbf7ba420, v9
	v_mul_f32_e32 v11, 0x3eb8f4ab, v6
	v_fma_f32 v9, 0xbf7ba420, v7, -v9
	v_dual_add_f32 v4, v4, v10 :: v_dual_add_f32 v15, v15, v16
	s_delay_alu instid0(VALU_DEP_3) | instskip(SKIP_1) | instid1(VALU_DEP_4)
	v_dual_add_f32 v12, v42, v12 :: v_dual_fmamk_f32 v29, v7, 0x3f6eb680, v11
	v_fma_f32 v11, 0x3f6eb680, v7, -v11
	v_dual_mul_f32 v10, 0xbf06c442, v6 :: v_dual_add_f32 v9, v9, v13
	s_delay_alu instid0(VALU_DEP_2) | instskip(NEXT) | instid1(VALU_DEP_2)
	v_dual_add_f32 v16, v29, v21 :: v_dual_add_f32 v11, v11, v19
	v_fmamk_f32 v13, v7, 0xbf59a7d5, v10
	v_mul_f32_e32 v21, 0x3f2c7751, v6
	v_fma_f32 v10, 0xbf59a7d5, v7, -v10
	s_delay_alu instid0(VALU_DEP_1) | instskip(NEXT) | instid1(VALU_DEP_3)
	v_dual_add_f32 v13, v13, v17 :: v_dual_add_f32 v10, v10, v14
	v_fma_f32 v14, 0x3f3d2fb0, v7, -v21
	s_delay_alu instid0(VALU_DEP_1) | instskip(SKIP_1) | instid1(VALU_DEP_2)
	v_dual_add_f32 v14, v14, v23 :: v_dual_fmamk_f32 v19, v7, 0x3f3d2fb0, v21
	v_mul_f32_e32 v21, 0x3f65296c, v6
	v_add_f32_e32 v19, v19, v20
	s_delay_alu instid0(VALU_DEP_2) | instskip(NEXT) | instid1(VALU_DEP_1)
	v_fmamk_f32 v20, v7, 0x3ee437d1, v21
	v_dual_mul_f32 v17, 0xbf4c4adb, v6 :: v_dual_add_f32 v20, v20, v40
	s_delay_alu instid0(VALU_DEP_1) | instskip(SKIP_1) | instid1(VALU_DEP_2)
	v_fmamk_f32 v29, v7, 0xbf1a4643, v17
	v_fma_f32 v17, 0xbf1a4643, v7, -v17
	v_add_f32_e32 v23, v29, v43
	s_delay_alu instid0(VALU_DEP_2) | instskip(SKIP_1) | instid1(VALU_DEP_2)
	v_dual_add_f32 v17, v17, v28 :: v_dual_mul_f32 v28, 0xbf763a35, v6
	v_mul_f32_e32 v6, 0x3f7ee86f, v6
	v_fmamk_f32 v29, v7, 0xbe8c1d8e, v28
	s_delay_alu instid0(VALU_DEP_2) | instskip(SKIP_2) | instid1(VALU_DEP_4)
	v_fmamk_f32 v40, v7, 0x3dbcf732, v6
	v_fma_f32 v6, 0x3dbcf732, v7, -v6
	v_fma_f32 v28, 0xbe8c1d8e, v7, -v28
	v_add_f32_e32 v12, v29, v12
	v_fma_f32 v21, 0x3ee437d1, v7, -v21
	s_delay_alu instid0(VALU_DEP_4) | instskip(NEXT) | instid1(VALU_DEP_4)
	v_dual_add_f32 v4, v6, v4 :: v_dual_add_f32 v5, v40, v5
	v_add_f32_e32 v8, v28, v8
	s_delay_alu instid0(VALU_DEP_3) | instskip(NEXT) | instid1(VALU_DEP_1)
	v_dual_add_f32 v18, v21, v18 :: v_dual_lshlrev_b32 v21, 6, v0
	v_add3_u32 v7, v61, v21, v52
	ds_store_2addr_b32 v7, v41, v15 offset1:1
	ds_store_2addr_b32 v7, v16, v13 offset0:2 offset1:3
	ds_store_2addr_b32 v7, v19, v23 offset0:4 offset1:5
	;; [unrolled: 1-line block ×7, first 2 shown]
	ds_store_b32 v7, v9 offset:64
.LBB0_14:
	s_wait_alu 0xfffe
	s_or_b32 exec_lo, exec_lo, s1
	v_and_b32_e32 v4, 0xff, v0
	v_add_nc_u32_e32 v20, 0x44, v0
	v_add_nc_u32_e32 v21, 0x88, v0
	v_add_nc_u32_e32 v23, 0xcc, v0
	global_wb scope:SCOPE_SE
	s_wait_dscnt 0x0
	v_mul_lo_u16 v4, 0xf1, v4
	s_barrier_signal -1
	v_and_b32_e32 v70, 0xff, v21
	v_and_b32_e32 v6, 0xffff, v23
	s_barrier_wait -1
	v_lshrrev_b16 v69, 12, v4
	v_and_b32_e32 v4, 0xff, v20
	global_inv scope:SCOPE_SE
	v_mul_u32_u24_e32 v74, 0xf0f1, v6
	v_mul_u32_u24_e32 v79, 3, v0
	v_mul_lo_u16 v5, v69, 17
	v_mul_lo_u16 v4, 0xf1, v4
	s_delay_alu instid0(VALU_DEP_4) | instskip(SKIP_1) | instid1(VALU_DEP_4)
	v_lshrrev_b32_e32 v75, 20, v74
	v_lshrrev_b32_e32 v74, 22, v74
	v_sub_nc_u16 v5, v0, v5
	s_delay_alu instid0(VALU_DEP_4)
	v_lshrrev_b16 v71, 12, v4
	v_mul_lo_u16 v4, 0xf1, v70
	v_mul_lo_u16 v10, v75, 17
	v_mad_u32_u24 v75, 0x110, v75, 0
	v_and_b32_e32 v72, 0xff, v5
	v_mul_lo_u16 v5, v71, 17
	v_lshrrev_b16 v73, 12, v4
	v_and_b32_e32 v71, 0xffff, v71
	v_mul_lo_u16 v74, 0x44, v74
	v_mul_u32_u24_e32 v4, 3, v72
	v_sub_nc_u16 v5, v20, v5
	v_mul_lo_u16 v6, v73, 17
	v_mad_u32_u24 v71, 0x110, v71, 0
	v_and_b32_e32 v73, 0xffff, v73
	v_lshlrev_b32_e32 v8, 3, v4
	v_and_b32_e32 v76, 0xff, v5
	v_sub_nc_u16 v9, v21, v6
	s_clause 0x1
	global_load_b128 v[4:7], v8, s[4:5]
	global_load_b64 v[28:29], v8, s[4:5] offset:16
	v_mul_u32_u24_e32 v8, 3, v76
	v_and_b32_e32 v77, 0xff, v9
	v_sub_nc_u16 v9, v23, v10
	v_mad_u32_u24 v73, 0x110, v73, 0
	s_delay_alu instid0(VALU_DEP_4) | instskip(NEXT) | instid1(VALU_DEP_4)
	v_lshlrev_b32_e32 v12, 3, v8
	v_mul_u32_u24_e32 v13, 3, v77
	s_delay_alu instid0(VALU_DEP_4)
	v_and_b32_e32 v78, 0xffff, v9
	global_load_b128 v[8:11], v12, s[4:5]
	v_lshlrev_b32_e32 v16, 3, v13
	v_mul_u32_u24_e32 v17, 3, v78
	s_clause 0x1
	global_load_b64 v[40:41], v12, s[4:5] offset:16
	global_load_b128 v[12:15], v16, s[4:5]
	v_lshlrev_b32_e32 v76, 2, v76
	v_lshlrev_b32_e32 v44, 3, v17
	s_clause 0x2
	global_load_b64 v[42:43], v16, s[4:5] offset:16
	global_load_b128 v[16:19], v44, s[4:5]
	global_load_b64 v[44:45], v44, s[4:5] offset:16
	ds_load_2addr_b32 v[46:47], v57 offset0:76 offset1:144
	ds_load_2addr_b32 v[48:49], v59 offset0:92 offset1:160
	ds_load_2addr_b32 v[50:51], v58 offset0:108 offset1:176
	ds_load_2addr_b32 v[61:62], v22 offset0:68 offset1:136
	ds_load_2addr_b32 v[63:64], v55 offset0:84 offset1:152
	ds_load_2addr_b32 v[65:66], v54 offset0:100 offset1:168
	ds_load_2addr_b32 v[67:68], v56 offset0:116 offset1:184
	ds_load_b32 v80, v53
	ds_load_b32 v81, v22 offset:4080
	v_add3_u32 v71, v71, v76, v52
	v_and_b32_e32 v69, 0xffff, v69
	v_lshlrev_b32_e32 v78, 2, v78
	global_wb scope:SCOPE_SE
	s_wait_loadcnt_dscnt 0x0
	s_barrier_signal -1
	s_barrier_wait -1
	v_mad_u32_u24 v69, 0x110, v69, 0
	global_inv scope:SCOPE_SE
	v_mul_f32_e32 v76, v49, v7
	v_mul_f32_e32 v7, v33, v7
	s_delay_alu instid0(VALU_DEP_1) | instskip(NEXT) | instid1(VALU_DEP_1)
	v_dual_fmac_f32 v7, v49, v6 :: v_dual_lshlrev_b32 v72, 2, v72
	v_sub_f32_e32 v7, v80, v7
	v_lshlrev_b32_e32 v77, 2, v77
	s_delay_alu instid0(VALU_DEP_3) | instskip(NEXT) | instid1(VALU_DEP_2)
	v_add3_u32 v69, v69, v72, v52
	v_add3_u32 v72, v73, v77, v52
	v_add3_u32 v73, v75, v78, v52
	v_mul_f32_e32 v75, v47, v5
	v_mul_f32_e32 v5, v27, v5
	;; [unrolled: 1-line block ×5, first 2 shown]
	v_fma_f32 v27, v27, v4, -v75
	v_fmac_f32_e32 v5, v47, v4
	v_fma_f32 v4, v33, v6, -v76
	v_fma_f32 v6, v31, v28, -v77
	v_fmac_f32_e32 v29, v51, v28
	v_mul_f32_e32 v28, v63, v9
	v_mul_f32_e32 v9, v38, v9
	;; [unrolled: 1-line block ×3, first 2 shown]
	v_mul_lo_u16 v70, 0x79, v70
	v_mul_f32_e32 v11, v36, v11
	v_fma_f32 v28, v38, v8, -v28
	v_fmac_f32_e32 v9, v63, v8
	v_fma_f32 v8, v36, v10, -v31
	v_lshrrev_b16 v70, 13, v70
	v_mul_f32_e32 v15, v37, v15
	v_mul_f32_e32 v33, v67, v41
	;; [unrolled: 1-line block ×3, first 2 shown]
	v_sub_f32_e32 v8, v24, v8
	v_mul_lo_u16 v70, 0x44, v70
	v_mul_f32_e32 v13, v39, v13
	v_mul_f32_e32 v41, v34, v41
	v_fma_f32 v33, v34, v40, -v33
	v_fma_f32 v24, v24, 2.0, -v8
	v_dual_fmac_f32 v11, v65, v10 :: v_dual_mul_f32 v10, v30, v19
	v_lshlrev_b32_e32 v79, 3, v79
	v_sub_nc_u16 v70, v21, v70
	v_fma_f32 v34, v39, v12, -v47
	v_fmac_f32_e32 v15, v66, v14
	v_fmac_f32_e32 v10, v50, v18
	v_mul_f32_e32 v76, v50, v19
	v_and_b32_e32 v70, 0xff, v70
	v_sub_nc_u16 v74, v23, v74
	v_sub_f32_e32 v15, v62, v15
	v_sub_f32_e32 v10, v46, v10
	;; [unrolled: 1-line block ×4, first 2 shown]
	s_delay_alu instid0(VALU_DEP_3)
	v_fma_f32 v38, v46, 2.0, -v10
	v_fmac_f32_e32 v13, v64, v12
	v_fma_f32 v12, v37, v14, -v49
	v_mul_f32_e32 v51, v68, v43
	v_mul_f32_e32 v43, v35, v43
	v_fma_f32 v1, v1, 2.0, -v4
	v_fma_f32 v27, v27, 2.0, -v6
	v_sub_f32_e32 v12, v25, v12
	v_fma_f32 v14, v35, v42, -v51
	v_mul_f32_e32 v75, v48, v17
	v_mul_f32_e32 v17, v32, v17
	v_sub_f32_e32 v27, v1, v27
	v_fma_f32 v25, v25, 2.0, -v12
	v_dual_sub_f32 v14, v34, v14 :: v_dual_mul_f32 v31, v60, v45
	v_fma_f32 v32, v32, v16, -v75
	v_mul_f32_e32 v19, v81, v45
	v_fmac_f32_e32 v17, v48, v16
	v_fma_f32 v16, v30, v18, -v76
	v_fma_f32 v34, v34, 2.0, -v14
	v_add_f32_e32 v14, v15, v14
	v_fma_f32 v18, v60, v44, -v19
	v_dual_fmac_f32 v31, v81, v44 :: v_dual_sub_f32 v30, v28, v33
	v_dual_sub_f32 v16, v26, v16 :: v_dual_sub_f32 v19, v5, v29
	s_delay_alu instid0(VALU_DEP_2) | instskip(SKIP_1) | instid1(VALU_DEP_4)
	v_dual_sub_f32 v18, v32, v18 :: v_dual_sub_f32 v31, v17, v31
	v_fmac_f32_e32 v41, v67, v40
	v_fma_f32 v28, v28, 2.0, -v30
	s_delay_alu instid0(VALU_DEP_4) | instskip(NEXT) | instid1(VALU_DEP_4)
	v_fma_f32 v26, v26, 2.0, -v16
	v_fma_f32 v32, v32, 2.0, -v18
	v_add_f32_e32 v18, v10, v18
	v_fmac_f32_e32 v43, v68, v42
	v_fma_f32 v17, v17, 2.0, -v31
	v_dual_sub_f32 v33, v9, v41 :: v_dual_sub_f32 v28, v24, v28
	v_sub_f32_e32 v11, v61, v11
	v_fma_f32 v5, v5, 2.0, -v19
	v_lshlrev_b32_e32 v42, 2, v70
	v_fma_f32 v29, v80, 2.0, -v7
	v_sub_f32_e32 v32, v26, v32
	v_dual_sub_f32 v40, v38, v17 :: v_dual_sub_f32 v35, v13, v43
	v_fma_f32 v36, v61, 2.0, -v11
	v_fma_f32 v9, v9, 2.0, -v33
	v_sub_f32_e32 v5, v29, v5
	v_add_f32_e32 v37, v11, v30
	v_fma_f32 v30, v62, 2.0, -v15
	v_fma_f32 v13, v13, 2.0, -v35
	v_dual_sub_f32 v19, v4, v19 :: v_dual_add_f32 v6, v7, v6
	v_sub_f32_e32 v33, v8, v33
	v_sub_f32_e32 v9, v36, v9
	;; [unrolled: 1-line block ×3, first 2 shown]
	v_fma_f32 v39, v29, 2.0, -v5
	v_sub_f32_e32 v29, v25, v34
	v_sub_f32_e32 v31, v16, v31
	;; [unrolled: 1-line block ×3, first 2 shown]
	v_fma_f32 v4, v4, 2.0, -v19
	v_fma_f32 v7, v7, 2.0, -v6
	;; [unrolled: 1-line block ×5, first 2 shown]
	ds_store_2addr_b32 v69, v27, v19 offset0:34 offset1:51
	v_fma_f32 v17, v24, 2.0, -v28
	v_fma_f32 v19, v36, 2.0, -v9
	;; [unrolled: 1-line block ×10, first 2 shown]
	ds_store_2addr_b32 v69, v1, v4 offset1:17
	ds_store_2addr_b32 v71, v28, v33 offset0:34 offset1:51
	ds_store_2addr_b32 v71, v17, v8 offset1:17
	ds_store_2addr_b32 v72, v24, v12 offset1:17
	ds_store_2addr_b32 v72, v29, v35 offset0:34 offset1:51
	ds_store_2addr_b32 v73, v25, v16 offset1:17
	ds_store_2addr_b32 v73, v32, v31 offset0:34 offset1:51
	global_wb scope:SCOPE_SE
	s_wait_dscnt 0x0
	s_barrier_signal -1
	s_barrier_wait -1
	global_inv scope:SCOPE_SE
	ds_load_2addr_b32 v[16:17], v57 offset0:76 offset1:144
	ds_load_2addr_b32 v[24:25], v59 offset0:92 offset1:160
	;; [unrolled: 1-line block ×7, first 2 shown]
	ds_load_b32 v64, v53
	ds_load_b32 v65, v22 offset:4080
	global_wb scope:SCOPE_SE
	s_wait_dscnt 0x0
	s_barrier_signal -1
	s_barrier_wait -1
	global_inv scope:SCOPE_SE
	ds_store_2addr_b32 v69, v39, v7 offset1:17
	ds_store_2addr_b32 v69, v5, v6 offset0:34 offset1:51
	ds_store_2addr_b32 v71, v19, v11 offset1:17
	ds_store_2addr_b32 v71, v9, v37 offset0:34 offset1:51
	;; [unrolled: 2-line block ×4, first 2 shown]
	v_and_b32_e32 v18, 0xffff, v74
	v_mul_u32_u24_e32 v1, 3, v70
	global_wb scope:SCOPE_SE
	s_wait_dscnt 0x0
	s_barrier_signal -1
	s_barrier_wait -1
	v_mul_u32_u24_e32 v12, 3, v18
	v_lshlrev_b32_e32 v1, 3, v1
	global_inv scope:SCOPE_SE
	s_clause 0x1
	global_load_b128 v[4:7], v79, s[4:5] offset:408
	global_load_b64 v[36:37], v79, s[4:5] offset:424
	v_lshlrev_b32_e32 v19, 3, v12
	s_clause 0x3
	global_load_b128 v[8:11], v1, s[4:5] offset:408
	global_load_b64 v[38:39], v1, s[4:5] offset:424
	global_load_b128 v[12:15], v19, s[4:5] offset:408
	global_load_b64 v[40:41], v19, s[4:5] offset:424
	v_dual_mov_b32 v1, 0 :: v_dual_lshlrev_b32 v44, 2, v18
	s_delay_alu instid0(VALU_DEP_1)
	v_lshlrev_b64_e32 v[18:19], 3, v[0:1]
	v_add3_u32 v1, 0, v42, v52
	ds_load_2addr_b32 v[42:43], v57 offset0:76 offset1:144
	v_add3_u32 v52, 0, v44, v52
	ds_load_2addr_b32 v[44:45], v59 offset0:92 offset1:160
	ds_load_2addr_b32 v[46:47], v58 offset0:108 offset1:176
	;; [unrolled: 1-line block ×6, first 2 shown]
	ds_load_b32 v66, v53
	ds_load_b32 v67, v22 offset:4080
	v_add_co_u32 v18, s0, s4, v18
	s_wait_alu 0xf1ff
	v_add_co_ci_u32_e64 v19, s0, s5, v19, s0
	v_add_nc_u32_e32 v52, 0xc00, v52
	global_wb scope:SCOPE_SE
	s_wait_loadcnt_dscnt 0x0
	s_barrier_signal -1
	s_barrier_wait -1
	global_inv scope:SCOPE_SE
	v_mul_f32_e32 v68, v43, v5
	v_mul_f32_e32 v72, v47, v37
	;; [unrolled: 1-line block ×8, first 2 shown]
	v_dual_mul_f32 v15, v26, v15 :: v_dual_mul_f32 v82, v67, v41
	s_delay_alu instid0(VALU_DEP_4) | instskip(NEXT) | instid1(VALU_DEP_4)
	v_fma_f32 v24, v24, v12, -v80
	v_fmac_f32_e32 v13, v44, v12
	s_delay_alu instid0(VALU_DEP_4) | instskip(NEXT) | instid1(VALU_DEP_4)
	v_fma_f32 v12, v26, v14, -v81
	v_fmac_f32_e32 v15, v46, v14
	v_fma_f32 v14, v65, v40, -v82
	v_mul_f32_e32 v37, v34, v37
	v_mul_f32_e32 v77, v49, v9
	;; [unrolled: 1-line block ×6, first 2 shown]
	v_dual_sub_f32 v15, v42, v15 :: v_dual_sub_f32 v14, v24, v14
	v_mul_f32_e32 v69, v17, v5
	v_mul_f32_e32 v5, v30, v5
	v_fma_f32 v17, v17, v4, -v68
	v_fma_f32 v27, v27, v36, -v72
	v_mul_f32_e32 v41, v65, v41
	v_fmac_f32_e32 v37, v60, v36
	v_fmac_f32_e32 v5, v48, v4
	v_fma_f32 v31, v31, v8, -v77
	v_fmac_f32_e32 v9, v49, v8
	v_fma_f32 v8, v33, v10, -v78
	;; [unrolled: 2-line block ×3, first 2 shown]
	v_sub_f32_e32 v27, v17, v27
	v_fmac_f32_e32 v41, v67, v40
	v_sub_f32_e32 v33, v5, v37
	v_sub_f32_e32 v11, v63, v11
	;; [unrolled: 1-line block ×4, first 2 shown]
	v_mul_f32_e32 v70, v45, v7
	v_fma_f32 v17, v17, 2.0, -v27
	v_mul_f32_e32 v71, v25, v7
	v_mul_f32_e32 v39, v35, v39
	v_sub_f32_e32 v35, v13, v41
	v_fma_f32 v5, v5, 2.0, -v33
	v_mul_f32_e32 v75, v50, v7
	v_fma_f32 v31, v31, 2.0, -v10
	v_add_f32_e32 v41, v11, v10
	v_fma_f32 v10, v16, 2.0, -v12
	v_fma_f32 v24, v24, 2.0, -v14
	v_mul_f32_e32 v7, v32, v7
	v_fma_f32 v25, v25, v6, -v70
	v_fmac_f32_e32 v71, v45, v6
	v_fmac_f32_e32 v73, v47, v36
	v_fma_f32 v16, v42, 2.0, -v15
	v_add_f32_e32 v42, v15, v14
	v_fmac_f32_e32 v69, v43, v4
	v_fma_f32 v30, v30, v4, -v74
	v_fma_f32 v4, v32, v6, -v75
	v_fmac_f32_e32 v7, v50, v6
	v_fma_f32 v6, v34, v36, -v76
	v_fmac_f32_e32 v39, v61, v38
	v_dual_sub_f32 v25, v64, v25 :: v_dual_sub_f32 v26, v66, v71
	v_sub_f32_e32 v32, v69, v73
	v_dual_sub_f32 v4, v28, v4 :: v_dual_sub_f32 v7, v62, v7
	v_sub_f32_e32 v6, v30, v6
	v_sub_f32_e32 v8, v29, v8
	;; [unrolled: 1-line block ×3, first 2 shown]
	v_fma_f32 v36, v64, 2.0, -v25
	v_fma_f32 v37, v66, 2.0, -v26
	;; [unrolled: 1-line block ×3, first 2 shown]
	v_dual_sub_f32 v32, v25, v32 :: v_dual_add_f32 v27, v26, v27
	v_fma_f32 v28, v28, 2.0, -v4
	v_fma_f32 v39, v62, 2.0, -v7
	;; [unrolled: 1-line block ×3, first 2 shown]
	v_dual_add_f32 v40, v7, v6 :: v_dual_add_nc_u32 v1, 0x800, v1
	v_fma_f32 v6, v29, 2.0, -v8
	v_fma_f32 v29, v63, 2.0, -v11
	;; [unrolled: 1-line block ×3, first 2 shown]
	v_sub_f32_e32 v34, v8, v34
	v_fma_f32 v13, v13, 2.0, -v35
	v_sub_f32_e32 v14, v36, v17
	v_dual_sub_f32 v38, v37, v38 :: v_dual_sub_f32 v35, v12, v35
	v_fma_f32 v17, v25, 2.0, -v32
	v_fma_f32 v25, v26, 2.0, -v27
	v_sub_f32_e32 v26, v28, v30
	v_sub_f32_e32 v30, v39, v5
	;; [unrolled: 1-line block ×3, first 2 shown]
	v_fma_f32 v43, v7, 2.0, -v40
	v_sub_f32_e32 v5, v6, v31
	v_sub_f32_e32 v31, v29, v9
	v_fma_f32 v7, v8, 2.0, -v34
	v_sub_f32_e32 v8, v10, v24
	v_fma_f32 v44, v11, 2.0, -v41
	;; [unrolled: 2-line block ×3, first 2 shown]
	v_fma_f32 v36, v37, 2.0, -v38
	v_fma_f32 v9, v12, 2.0, -v35
	;; [unrolled: 1-line block ×10, first 2 shown]
	ds_store_2addr_b32 v22, v14, v32 offset0:136 offset1:204
	ds_store_2addr_b32 v55, v26, v33 offset0:152 offset1:220
	;; [unrolled: 1-line block ×4, first 2 shown]
	ds_store_2addr_b32 v22, v11, v17 offset1:68
	ds_store_2addr_b32 v55, v12, v4 offset0:16 offset1:84
	ds_store_2addr_b32 v1, v6, v7 offset0:32 offset1:100
	;; [unrolled: 1-line block ×3, first 2 shown]
	global_wb scope:SCOPE_SE
	s_wait_dscnt 0x0
	s_barrier_signal -1
	s_barrier_wait -1
	global_inv scope:SCOPE_SE
	ds_load_2addr_b32 v[4:5], v59 offset0:92 offset1:160
	ds_load_2addr_b32 v[6:7], v22 offset0:68 offset1:136
	;; [unrolled: 1-line block ×7, first 2 shown]
	ds_load_b32 v46, v53
	ds_load_b32 v47, v22 offset:4080
	global_wb scope:SCOPE_SE
	s_wait_dscnt 0x0
	s_barrier_signal -1
	s_barrier_wait -1
	global_inv scope:SCOPE_SE
	ds_store_2addr_b32 v22, v36, v25 offset1:68
	ds_store_2addr_b32 v22, v38, v27 offset0:136 offset1:204
	ds_store_2addr_b32 v55, v28, v43 offset0:16 offset1:84
	;; [unrolled: 1-line block ×7, first 2 shown]
	global_wb scope:SCOPE_SE
	s_wait_dscnt 0x0
	s_barrier_signal -1
	s_barrier_wait -1
	global_inv scope:SCOPE_SE
	s_clause 0x3
	global_load_b64 v[24:25], v[18:19], off offset:2040
	global_load_b64 v[26:27], v[18:19], off offset:2584
	;; [unrolled: 1-line block ×4, first 2 shown]
	ds_load_2addr_b32 v[32:33], v59 offset0:92 offset1:160
	ds_load_2addr_b32 v[34:35], v54 offset0:100 offset1:168
	;; [unrolled: 1-line block ×6, first 2 shown]
	ds_load_b32 v1, v53
	ds_load_b32 v48, v22 offset:4080
	ds_load_2addr_b32 v[44:45], v55 offset0:84 offset1:152
	global_wb scope:SCOPE_SE
	s_wait_loadcnt_dscnt 0x0
	s_barrier_signal -1
	s_barrier_wait -1
	global_inv scope:SCOPE_SE
	v_mul_f32_e32 v49, v33, v25
	v_dual_mul_f32 v50, v5, v25 :: v_dual_mul_f32 v51, v34, v27
	v_mul_f32_e32 v60, v35, v29
	v_mul_f32_e32 v62, v36, v31
	;; [unrolled: 1-line block ×4, first 2 shown]
	v_dual_mul_f32 v65, v38, v27 :: v_dual_mul_f32 v66, v39, v29
	v_mul_f32_e32 v67, v48, v31
	v_dual_mul_f32 v52, v8, v27 :: v_dual_mul_f32 v61, v9, v29
	v_mul_f32_e32 v63, v12, v31
	v_mul_f32_e32 v27, v16, v27
	;; [unrolled: 1-line block ×3, first 2 shown]
	v_fma_f32 v5, v5, v24, -v49
	v_fmac_f32_e32 v50, v33, v24
	v_fma_f32 v8, v8, v26, -v51
	v_fma_f32 v9, v9, v28, -v60
	v_fma_f32 v12, v12, v30, -v62
	v_fma_f32 v13, v13, v24, -v64
	v_fmac_f32_e32 v25, v37, v24
	v_fma_f32 v16, v16, v26, -v65
	v_fma_f32 v17, v17, v28, -v66
	;; [unrolled: 1-line block ×3, first 2 shown]
	v_fmac_f32_e32 v52, v34, v26
	v_fmac_f32_e32 v27, v38, v26
	v_dual_sub_f32 v5, v46, v5 :: v_dual_sub_f32 v26, v1, v50
	v_dual_sub_f32 v8, v6, v8 :: v_dual_sub_f32 v9, v7, v9
	;; [unrolled: 1-line block ×4, first 2 shown]
	v_sub_f32_e32 v24, v4, v24
	v_fmac_f32_e32 v61, v35, v28
	v_fma_f32 v34, v46, 2.0, -v5
	v_fma_f32 v35, v1, 2.0, -v26
	;; [unrolled: 1-line block ×9, first 2 shown]
	ds_store_2addr_b32 v55, v5, v8 offset0:16 offset1:84
	ds_store_2addr_b32 v55, v9, v12 offset0:152 offset1:220
	;; [unrolled: 1-line block ×4, first 2 shown]
	ds_store_2addr_b32 v22, v34, v1 offset1:68
	ds_store_2addr_b32 v22, v6, v7 offset0:136 offset1:204
	ds_store_2addr_b32 v54, v10, v11 offset0:32 offset1:100
	;; [unrolled: 1-line block ×3, first 2 shown]
	global_wb scope:SCOPE_SE
	s_wait_dscnt 0x0
	s_barrier_signal -1
	s_barrier_wait -1
	global_inv scope:SCOPE_SE
	ds_load_2addr_b32 v[8:9], v59 offset0:92 offset1:160
	ds_load_2addr_b32 v[4:5], v22 offset0:68 offset1:136
	;; [unrolled: 1-line block ×7, first 2 shown]
	ds_load_b32 v1, v53
	ds_load_b32 v24, v22 offset:4080
	v_mul_f32_e32 v31, v47, v31
	v_fmac_f32_e32 v63, v36, v30
	v_fmac_f32_e32 v29, v39, v28
	v_dual_sub_f32 v28, v40, v52 :: v_dual_sub_f32 v25, v43, v25
	s_delay_alu instid0(VALU_DEP_4) | instskip(NEXT) | instid1(VALU_DEP_4)
	v_dual_fmac_f32 v31, v48, v30 :: v_dual_sub_f32 v30, v41, v61
	v_sub_f32_e32 v33, v42, v63
	v_sub_f32_e32 v27, v44, v27
	;; [unrolled: 1-line block ×3, first 2 shown]
	s_delay_alu instid0(VALU_DEP_4)
	v_sub_f32_e32 v31, v32, v31
	v_fma_f32 v36, v40, 2.0, -v28
	v_fma_f32 v37, v41, 2.0, -v30
	v_fma_f32 v38, v42, 2.0, -v33
	v_fma_f32 v39, v43, 2.0, -v25
	v_fma_f32 v34, v44, 2.0, -v27
	v_fma_f32 v40, v45, 2.0, -v29
	v_fma_f32 v32, v32, 2.0, -v31
	global_wb scope:SCOPE_SE
	s_wait_dscnt 0x0
	s_barrier_signal -1
	s_barrier_wait -1
	global_inv scope:SCOPE_SE
	ds_store_2addr_b32 v22, v35, v36 offset1:68
	ds_store_2addr_b32 v55, v26, v28 offset0:16 offset1:84
	ds_store_2addr_b32 v22, v37, v38 offset0:136 offset1:204
	ds_store_2addr_b32 v55, v30, v33 offset0:152 offset1:220
	ds_store_2addr_b32 v54, v39, v34 offset0:32 offset1:100
	ds_store_2addr_b32 v56, v25, v27 offset0:48 offset1:116
	ds_store_2addr_b32 v54, v40, v32 offset0:168 offset1:236
	ds_store_2addr_b32 v56, v29, v31 offset0:184 offset1:252
	global_wb scope:SCOPE_SE
	s_wait_dscnt 0x0
	s_barrier_signal -1
	s_barrier_wait -1
	global_inv scope:SCOPE_SE
	s_and_saveexec_b32 s0, vcc_lo
	s_cbranch_execz .LBB0_16
; %bb.15:
	s_clause 0x7
	global_load_b64 v[25:26], v[18:19], off offset:8024
	global_load_b64 v[27:28], v[18:19], off offset:7480
	;; [unrolled: 1-line block ×8, first 2 shown]
	v_add_nc_u32_e32 v70, 0x2ec, v0
	v_add_nc_u32_e32 v72, 0x110, v0
	v_mad_co_u64_u32 v[41:42], null, s8, v0, 0
	v_add_nc_u32_e32 v68, 0x2a8, v0
	s_delay_alu instid0(VALU_DEP_4)
	v_mad_co_u64_u32 v[55:56], null, s8, v70, 0
	v_add_nc_u32_e32 v67, 0x264, v0
	v_mad_co_u64_u32 v[57:58], null, s8, v72, 0
	v_add_nc_u32_e32 v66, 0x220, v0
	v_add_nc_u32_e32 v47, 0x600, v22
	ds_load_2addr_b32 v[39:40], v22 offset0:68 offset1:136
	ds_load_b32 v88, v22 offset:4080
	ds_load_b32 v89, v53
	v_mad_co_u64_u32 v[43:44], null, s8, v21, 0
	v_add_nc_u32_e32 v73, 0x400, v22
	v_mad_co_u64_u32 v[45:46], null, s8, v23, 0
	v_add_nc_u32_e32 v77, 0xa00, v22
	v_mad_co_u64_u32 v[49:50], null, s8, v66, 0
	v_add_nc_u32_e32 v79, 0x800, v22
	v_mad_co_u64_u32 v[51:52], null, s8, v67, 0
	v_add_nc_u32_e32 v74, 0xc00, v22
	v_mad_co_u64_u32 v[53:54], null, s8, v68, 0
	v_add_nc_u32_e32 v76, 0x200, v22
	v_mov_b32_e32 v22, v42
	v_add_co_u32 v90, vcc_lo, s10, v2
	s_wait_alu 0xfffd
	v_add_co_ci_u32_e32 v91, vcc_lo, s11, v3, vcc_lo
	v_mad_co_u64_u32 v[2:3], null, s8, v20, 0
	v_mad_co_u64_u32 v[63:64], null, s9, v0, v[22:23]
	v_add_nc_u32_e32 v75, 0x330, v0
	v_add_nc_u32_e32 v82, 0x1dc, v0
	v_mov_b32_e32 v42, v44
	v_mov_b32_e32 v44, v46
	v_add_nc_u32_e32 v78, 0x154, v0
	v_add_nc_u32_e32 v80, 0x374, v0
	v_mad_co_u64_u32 v[64:65], null, s9, v20, v[3:4]
	v_mad_co_u64_u32 v[20:21], null, s9, v21, v[42:43]
	v_mov_b32_e32 v42, v63
	v_mad_co_u64_u32 v[59:60], null, s8, v75, 0
	v_dual_mov_b32 v0, v50 :: v_dual_add_nc_u32 v81, 0x198, v0
	v_mul_hi_u32 v50, 0xf0f0f0f1, v82
	v_mad_co_u64_u32 v[22:23], null, s9, v23, v[44:45]
	v_mad_co_u64_u32 v[61:62], null, s8, v78, 0
	v_mov_b32_e32 v3, v52
	v_mov_b32_e32 v21, v54
	v_mad_co_u64_u32 v[65:66], null, s9, v66, v[0:1]
	v_mov_b32_e32 v0, v56
	v_lshrrev_b32_e32 v50, 9, v50
	v_mad_co_u64_u32 v[66:67], null, s9, v67, v[3:4]
	v_mov_b32_e32 v3, v64
	v_mad_co_u64_u32 v[67:68], null, s9, v68, v[21:22]
	v_mad_co_u64_u32 v[68:69], null, s8, v80, 0
	v_mad_co_u64_u32 v[70:71], null, s9, v70, v[0:1]
	v_mov_b32_e32 v0, v60
	v_mul_hi_u32 v23, 0xf0f0f0f1, v81
	v_mov_b32_e32 v21, v58
	v_mad_u32_u24 v85, 0x220, v50, v82
	v_mov_b32_e32 v44, v20
	v_mov_b32_e32 v20, v62
	;; [unrolled: 1-line block ×3, first 2 shown]
	v_mad_co_u64_u32 v[63:64], null, s9, v72, v[21:22]
	v_mad_co_u64_u32 v[71:72], null, s9, v75, v[0:1]
	s_delay_alu instid0(VALU_DEP_4)
	v_mad_co_u64_u32 v[20:21], null, s9, v78, v[20:21]
	ds_load_2addr_b32 v[77:78], v77 offset0:108 offset1:176
	ds_load_2addr_b32 v[21:22], v74 offset0:116 offset1:184
	v_mov_b32_e32 v0, v69
	v_lshrrev_b32_e32 v23, 9, v23
	v_mov_b32_e32 v50, v65
	ds_load_2addr_b32 v[47:48], v47 offset0:92 offset1:160
	v_mov_b32_e32 v52, v66
	v_mad_co_u64_u32 v[74:75], null, s9, v80, v[0:1]
	v_mad_u32_u24 v23, 0x220, v23, v81
	v_mov_b32_e32 v54, v67
	v_mad_co_u64_u32 v[66:67], null, s8, v85, 0
	ds_load_2addr_b32 v[75:76], v76 offset0:76 offset1:144
	v_mad_co_u64_u32 v[64:65], null, s8, v23, 0
	v_mov_b32_e32 v69, v74
	ds_load_2addr_b32 v[79:80], v79 offset0:100 offset1:168
	v_mov_b32_e32 v62, v20
	v_dual_mov_b32 v20, v67 :: v_dual_add_nc_u32 v87, 0x220, v85
	v_add_nc_u32_e32 v86, 0x220, v23
	ds_load_2addr_b32 v[72:73], v73 offset0:84 offset1:152
	v_lshlrev_b64_e32 v[41:42], 3, v[41:42]
	v_lshlrev_b64_e32 v[2:3], 3, v[2:3]
	v_mad_co_u64_u32 v[81:82], null, s8, v87, 0
	v_lshlrev_b64_e32 v[43:44], 3, v[43:44]
	v_lshlrev_b64_e32 v[68:69], 3, v[68:69]
	v_add_co_u32 v41, vcc_lo, v90, v41
	s_wait_alu 0xfffd
	v_add_co_ci_u32_e32 v42, vcc_lo, v91, v42, vcc_lo
	v_add_co_u32 v2, vcc_lo, v90, v2
	s_wait_alu 0xfffd
	v_add_co_ci_u32_e32 v3, vcc_lo, v91, v3, vcc_lo
	;; [unrolled: 3-line block ×3, first 2 shown]
	s_wait_loadcnt 0x4
	v_mul_f32_e32 v74, v15, v32
	s_wait_dscnt 0x5
	v_mul_f32_e32 v32, v78, v32
	s_delay_alu instid0(VALU_DEP_2) | instskip(SKIP_1) | instid1(VALU_DEP_1)
	v_fmac_f32_e32 v74, v78, v31
	v_mov_b32_e32 v0, v65
	v_mad_co_u64_u32 v[83:84], null, s9, v23, v[0:1]
	s_wait_dscnt 0x4
	v_mad_co_u64_u32 v[84:85], null, s9, v85, v[20:21]
	v_mul_f32_e32 v23, v27, v22
	s_delay_alu instid0(VALU_DEP_3) | instskip(NEXT) | instid1(VALU_DEP_2)
	v_dual_mul_f32 v22, v28, v22 :: v_dual_mov_b32 v65, v83
	v_fmac_f32_e32 v23, v17, v28
	s_delay_alu instid0(VALU_DEP_4)
	v_dual_mov_b32 v67, v84 :: v_dual_mov_b32 v58, v63
	s_wait_loadcnt 0x3
	v_mul_f32_e32 v83, v14, v34
	v_lshlrev_b64_e32 v[63:64], 3, v[64:65]
	v_mov_b32_e32 v56, v70
	v_lshlrev_b64_e32 v[65:66], 3, v[66:67]
	v_mul_f32_e32 v67, v29, v21
	v_fmac_f32_e32 v83, v77, v33
	v_lshlrev_b64_e32 v[49:50], 3, v[49:50]
	v_lshlrev_b64_e32 v[55:56], 3, v[55:56]
	v_mul_f32_e32 v34, v77, v34
	v_dual_fmac_f32 v67, v16, v30 :: v_dual_mov_b32 v60, v71
	v_mad_co_u64_u32 v[70:71], null, s8, v86, 0
	v_lshlrev_b64_e32 v[53:54], 3, v[53:54]
	v_fma_f32 v17, v17, v27, -v22
	v_fma_f32 v22, v14, v33, -v34
	s_wait_loadcnt 0x2
	v_mul_f32_e32 v84, v13, v36
	s_wait_dscnt 0x1
	v_mul_f32_e32 v36, v80, v36
	v_mov_b32_e32 v0, v71
	s_wait_dscnt 0x0
	v_dual_sub_f32 v14, v11, v17 :: v_dual_sub_f32 v17, v72, v67
	v_lshlrev_b64_e32 v[59:60], 3, v[59:60]
	v_fmac_f32_e32 v84, v80, v35
	v_mad_co_u64_u32 v[85:86], null, s9, v86, v[0:1]
	s_delay_alu instid0(VALU_DEP_4) | instskip(SKIP_1) | instid1(VALU_DEP_3)
	v_fma_f32 v28, v11, 2.0, -v14
	v_fma_f32 v11, v72, 2.0, -v17
	v_mov_b32_e32 v71, v85
	s_wait_loadcnt 0x1
	v_mul_f32_e32 v85, v12, v38
	v_lshlrev_b64_e32 v[45:46], 3, v[45:46]
	v_mul_f32_e32 v38, v79, v38
	v_lshlrev_b64_e32 v[70:71], 3, v[70:71]
	s_delay_alu instid0(VALU_DEP_4) | instskip(NEXT) | instid1(VALU_DEP_4)
	v_dual_fmac_f32 v85, v79, v37 :: v_dual_mul_f32 v0, v25, v88
	v_add_co_u32 v45, vcc_lo, v90, v45
	s_wait_alu 0xfffd
	v_add_co_ci_u32_e32 v46, vcc_lo, v91, v46, vcc_lo
	s_delay_alu instid0(VALU_DEP_3) | instskip(SKIP_4) | instid1(VALU_DEP_3)
	v_fmac_f32_e32 v0, v24, v26
	v_mov_b32_e32 v20, v82
	v_add_co_u32 v49, vcc_lo, v90, v49
	s_wait_alu 0xfffd
	v_add_co_ci_u32_e32 v50, vcc_lo, v91, v50, vcc_lo
	v_mad_co_u64_u32 v[86:87], null, s9, v87, v[20:21]
	v_mul_f32_e32 v21, v30, v21
	v_lshlrev_b64_e32 v[61:62], 3, v[61:62]
	v_mul_f32_e32 v20, v26, v88
	v_fma_f32 v26, v12, v37, -v38
	s_delay_alu instid0(VALU_DEP_4)
	v_fma_f32 v16, v16, v29, -v21
	v_mov_b32_e32 v82, v86
	s_wait_loadcnt 0x0
	v_mul_f32_e32 v86, v9, v19
	v_mul_f32_e32 v19, v48, v19
	v_lshlrev_b64_e32 v[51:52], 3, v[51:52]
	v_fma_f32 v21, v15, v31, -v32
	v_sub_f32_e32 v15, v73, v23
	v_lshlrev_b64_e32 v[57:58], 3, v[57:58]
	v_fma_f32 v20, v24, v25, -v20
	v_fma_f32 v24, v13, v35, -v36
	v_add_co_u32 v51, vcc_lo, v90, v51
	s_wait_alu 0xfffd
	v_add_co_ci_u32_e32 v52, vcc_lo, v91, v52, vcc_lo
	v_add_co_u32 v53, vcc_lo, v90, v53
	s_wait_alu 0xfffd
	v_add_co_ci_u32_e32 v54, vcc_lo, v91, v54, vcc_lo
	;; [unrolled: 3-line block ×6, first 2 shown]
	v_fmac_f32_e32 v86, v48, v18
	v_fma_f32 v9, v9, v18, -v19
	v_add_co_u32 v68, vcc_lo, v90, v68
	s_wait_alu 0xfffd
	v_add_co_ci_u32_e32 v69, vcc_lo, v91, v69, vcc_lo
	v_add_co_u32 v63, vcc_lo, v90, v63
	v_sub_f32_e32 v12, v8, v20
	v_sub_f32_e32 v20, v6, v22
	;; [unrolled: 1-line block ×6, first 2 shown]
	s_wait_alu 0xfffd
	v_add_co_ci_u32_e32 v64, vcc_lo, v91, v64, vcc_lo
	v_add_co_u32 v65, vcc_lo, v90, v65
	v_sub_f32_e32 v18, v7, v21
	v_sub_f32_e32 v21, v75, v83
	v_lshlrev_b64_e32 v[81:82], 3, v[81:82]
	v_sub_f32_e32 v25, v39, v85
	s_wait_alu 0xfffd
	v_add_co_ci_u32_e32 v66, vcc_lo, v91, v66, vcc_lo
	v_sub_f32_e32 v23, v40, v84
	v_add_co_u32 v70, vcc_lo, v90, v70
	v_sub_f32_e32 v13, v47, v0
	v_dual_sub_f32 v16, v10, v16 :: v_dual_sub_f32 v19, v76, v74
	v_fma_f32 v33, v89, 2.0, -v27
	v_fma_f32 v32, v1, 2.0, -v26
	s_wait_alu 0xfffd
	v_add_co_ci_u32_e32 v71, vcc_lo, v91, v71, vcc_lo
	v_fma_f32 v1, v39, 2.0, -v25
	v_fma_f32 v0, v4, 2.0, -v24
	v_add_co_u32 v81, vcc_lo, v90, v81
	v_fma_f32 v35, v40, 2.0, -v23
	v_fma_f32 v34, v5, 2.0, -v22
	s_wait_alu 0xfffd
	v_add_co_ci_u32_e32 v82, vcc_lo, v91, v82, vcc_lo
	v_fma_f32 v9, v47, 2.0, -v13
	v_fma_f32 v8, v8, 2.0, -v12
	;; [unrolled: 1-line block ×8, first 2 shown]
	s_clause 0xf
	global_store_b64 v[41:42], v[32:33], off
	global_store_b64 v[49:50], v[26:27], off
	;; [unrolled: 1-line block ×16, first 2 shown]
.LBB0_16:
	s_nop 0
	s_sendmsg sendmsg(MSG_DEALLOC_VGPRS)
	s_endpgm
	.section	.rodata,"a",@progbits
	.p2align	6, 0x0
	.amdhsa_kernel fft_rtc_fwd_len1088_factors_17_4_4_2_2_wgs_204_tpt_68_halfLds_sp_ip_CI_sbrr_dirReg
		.amdhsa_group_segment_fixed_size 0
		.amdhsa_private_segment_fixed_size 0
		.amdhsa_kernarg_size 88
		.amdhsa_user_sgpr_count 2
		.amdhsa_user_sgpr_dispatch_ptr 0
		.amdhsa_user_sgpr_queue_ptr 0
		.amdhsa_user_sgpr_kernarg_segment_ptr 1
		.amdhsa_user_sgpr_dispatch_id 0
		.amdhsa_user_sgpr_private_segment_size 0
		.amdhsa_wavefront_size32 1
		.amdhsa_uses_dynamic_stack 0
		.amdhsa_enable_private_segment 0
		.amdhsa_system_sgpr_workgroup_id_x 1
		.amdhsa_system_sgpr_workgroup_id_y 0
		.amdhsa_system_sgpr_workgroup_id_z 0
		.amdhsa_system_sgpr_workgroup_info 0
		.amdhsa_system_vgpr_workitem_id 0
		.amdhsa_next_free_vgpr 92
		.amdhsa_next_free_sgpr 35
		.amdhsa_reserve_vcc 1
		.amdhsa_float_round_mode_32 0
		.amdhsa_float_round_mode_16_64 0
		.amdhsa_float_denorm_mode_32 3
		.amdhsa_float_denorm_mode_16_64 3
		.amdhsa_fp16_overflow 0
		.amdhsa_workgroup_processor_mode 1
		.amdhsa_memory_ordered 1
		.amdhsa_forward_progress 0
		.amdhsa_round_robin_scheduling 0
		.amdhsa_exception_fp_ieee_invalid_op 0
		.amdhsa_exception_fp_denorm_src 0
		.amdhsa_exception_fp_ieee_div_zero 0
		.amdhsa_exception_fp_ieee_overflow 0
		.amdhsa_exception_fp_ieee_underflow 0
		.amdhsa_exception_fp_ieee_inexact 0
		.amdhsa_exception_int_div_zero 0
	.end_amdhsa_kernel
	.text
.Lfunc_end0:
	.size	fft_rtc_fwd_len1088_factors_17_4_4_2_2_wgs_204_tpt_68_halfLds_sp_ip_CI_sbrr_dirReg, .Lfunc_end0-fft_rtc_fwd_len1088_factors_17_4_4_2_2_wgs_204_tpt_68_halfLds_sp_ip_CI_sbrr_dirReg
                                        ; -- End function
	.section	.AMDGPU.csdata,"",@progbits
; Kernel info:
; codeLenInByte = 13884
; NumSgprs: 37
; NumVgprs: 92
; ScratchSize: 0
; MemoryBound: 0
; FloatMode: 240
; IeeeMode: 1
; LDSByteSize: 0 bytes/workgroup (compile time only)
; SGPRBlocks: 4
; VGPRBlocks: 11
; NumSGPRsForWavesPerEU: 37
; NumVGPRsForWavesPerEU: 92
; Occupancy: 16
; WaveLimiterHint : 1
; COMPUTE_PGM_RSRC2:SCRATCH_EN: 0
; COMPUTE_PGM_RSRC2:USER_SGPR: 2
; COMPUTE_PGM_RSRC2:TRAP_HANDLER: 0
; COMPUTE_PGM_RSRC2:TGID_X_EN: 1
; COMPUTE_PGM_RSRC2:TGID_Y_EN: 0
; COMPUTE_PGM_RSRC2:TGID_Z_EN: 0
; COMPUTE_PGM_RSRC2:TIDIG_COMP_CNT: 0
	.text
	.p2alignl 7, 3214868480
	.fill 96, 4, 3214868480
	.type	__hip_cuid_b073c7ad6044991c,@object ; @__hip_cuid_b073c7ad6044991c
	.section	.bss,"aw",@nobits
	.globl	__hip_cuid_b073c7ad6044991c
__hip_cuid_b073c7ad6044991c:
	.byte	0                               ; 0x0
	.size	__hip_cuid_b073c7ad6044991c, 1

	.ident	"AMD clang version 19.0.0git (https://github.com/RadeonOpenCompute/llvm-project roc-6.4.0 25133 c7fe45cf4b819c5991fe208aaa96edf142730f1d)"
	.section	".note.GNU-stack","",@progbits
	.addrsig
	.addrsig_sym __hip_cuid_b073c7ad6044991c
	.amdgpu_metadata
---
amdhsa.kernels:
  - .args:
      - .actual_access:  read_only
        .address_space:  global
        .offset:         0
        .size:           8
        .value_kind:     global_buffer
      - .offset:         8
        .size:           8
        .value_kind:     by_value
      - .actual_access:  read_only
        .address_space:  global
        .offset:         16
        .size:           8
        .value_kind:     global_buffer
      - .actual_access:  read_only
        .address_space:  global
        .offset:         24
        .size:           8
        .value_kind:     global_buffer
      - .offset:         32
        .size:           8
        .value_kind:     by_value
      - .actual_access:  read_only
        .address_space:  global
        .offset:         40
        .size:           8
        .value_kind:     global_buffer
      - .actual_access:  read_only
        .address_space:  global
        .offset:         48
        .size:           8
        .value_kind:     global_buffer
      - .offset:         56
        .size:           4
        .value_kind:     by_value
      - .actual_access:  read_only
        .address_space:  global
        .offset:         64
        .size:           8
        .value_kind:     global_buffer
      - .actual_access:  read_only
        .address_space:  global
        .offset:         72
        .size:           8
        .value_kind:     global_buffer
      - .address_space:  global
        .offset:         80
        .size:           8
        .value_kind:     global_buffer
    .group_segment_fixed_size: 0
    .kernarg_segment_align: 8
    .kernarg_segment_size: 88
    .language:       OpenCL C
    .language_version:
      - 2
      - 0
    .max_flat_workgroup_size: 204
    .name:           fft_rtc_fwd_len1088_factors_17_4_4_2_2_wgs_204_tpt_68_halfLds_sp_ip_CI_sbrr_dirReg
    .private_segment_fixed_size: 0
    .sgpr_count:     37
    .sgpr_spill_count: 0
    .symbol:         fft_rtc_fwd_len1088_factors_17_4_4_2_2_wgs_204_tpt_68_halfLds_sp_ip_CI_sbrr_dirReg.kd
    .uniform_work_group_size: 1
    .uses_dynamic_stack: false
    .vgpr_count:     92
    .vgpr_spill_count: 0
    .wavefront_size: 32
    .workgroup_processor_mode: 1
amdhsa.target:   amdgcn-amd-amdhsa--gfx1201
amdhsa.version:
  - 1
  - 2
...

	.end_amdgpu_metadata
